;; amdgpu-corpus repo=ROCm/aiter kind=harvested arch=n/a opt=n/a

/root/src/amdgpu-assembly/repos/ROCm__aiter/hsa/gfx950/fmoe/silu/fmoe_bf16_blockscaleFp8_g1u1_vs_silu_1tg_ps_32x128.co:	file format elf64-amdgpu

Disassembly of section .text:

0000000000002e00 <_ZN5aiter47fmoe_bf16_blockscaleFp8_g1u1_vs_ps_silu_32x128E>:
	v_lshrrev_b32_e32 v1, 10, v0                               // 000000002E00: 2002008A
	v_lshrrev_b32_e32 v2, 10, v1                               // 000000002E04: 2004028A
	v_and_b32_e32 v2, 0x3ff, v2                                // 000000002E08: 260404FF 000003FF
	v_and_b32_e32 v1, 0x3ff, v1                                // 000000002E10: 260202FF 000003FF
	v_and_b32_e32 v0, 0x3ff, v0                                // 000000002E18: 260000FF 000003FF
	v_lshrrev_b32_e32 v3, 6, v0                                // 000000002E20: 20060086
	v_and_b32_e32 v0, 63, v0                                   // 000000002E24: 260000BF
	s_mov_b32 s2, s2                                           // 000000002E28: BE820002
	s_mov_b32 s3, s3                                           // 000000002E2C: BE830003
	s_mov_b32 s4, s4                                           // 000000002E30: BE840004
	s_mov_b32 s99, s2                                          // 000000002E34: BEE30002
	v_readfirstlane_b32 s7, v3                                 // 000000002E38: 7E0E0503
	s_and_b32 s1, s1, 0xffff                                   // 000000002E3C: 8601FF01 0000FFFF
	s_mov_b32 s96, 0                                           // 000000002E44: BEE00080
	s_mov_b32 s97, 0                                           // 000000002E48: BEE10080
	s_mov_b32 s100, 0                                          // 000000002E4C: BEE40080
	s_load_dword s96, s[0:1], 0x1a0                            // 000000002E50: C0021800 000001A0
	s_load_dword s97, s[0:1], 0x1b0                            // 000000002E58: C0021840 000001B0
	s_waitcnt lgkmcnt(0)                                       // 000000002E60: BF8CC07F
	s_cmp_eq_u32 s96, 0                                        // 000000002E64: BF068060
	s_cbranch_scc1 label_005C                                  // 000000002E68: BF850041
	v_cvt_f32_u32_e32 v44, s97                                 // 000000002E6C: 7E580C61
	s_sub_i32 s60, 0, s97                                      // 000000002E70: 81BC6180
	v_rcp_iflag_f32_e32 v44, v44                               // 000000002E74: 7E58472C
	s_nop 0                                                    // 000000002E78: BF800000
	v_mul_f32_e32 v44, 0x4f7ffffe, v44                         // 000000002E7C: 0A5858FF 4F7FFFFE
	v_cvt_u32_f32_e32 v44, v44                                 // 000000002E84: 7E580F2C
	v_mul_lo_u32 v45, s60, v44                                 // 000000002E88: D285002D 0002583C
	v_mul_hi_u32 v45, v44, v45                                 // 000000002E90: D286002D 00025B2C
	v_add_u32_e32 v44, v44, v45                                // 000000002E98: 68585B2C
	v_mul_hi_u32 v44, s96, v44                                 // 000000002E9C: D286002C 00025860
	v_mul_lo_u32 v45, v44, s97                                 // 000000002EA4: D285002D 0000C32C
	v_sub_u32_e32 v47, s96, v45                                // 000000002EAC: 6A5E5A60
	v_add_u32_e32 v46, 1, v44                                  // 000000002EB0: 685C5881
	v_cmp_le_u32_e32 vcc, s97, v47                             // 000000002EB4: 7D965E61
	v_subrev_u32_e32 v45, s97, v47                             // 000000002EB8: 6C5A5E61
	s_nop 0                                                    // 000000002EBC: BF800000
	v_cndmask_b32_e32 v44, v44, v46, vcc                       // 000000002EC0: 00585D2C
	v_cndmask_b32_e32 v47, v47, v45, vcc                       // 000000002EC4: 005E5B2F
	v_add_u32_e32 v45, 1, v44                                  // 000000002EC8: 685A5881
	v_cmp_le_u32_e32 vcc, s97, v47                             // 000000002ECC: 7D965E61
	s_nop 1                                                    // 000000002ED0: BF800001
	v_cndmask_b32_e32 v47, v44, v45, vcc                       // 000000002ED4: 005E5B2C
	s_nop 3                                                    // 000000002ED8: BF800003
	v_readfirstlane_b32 s98, v47                               // 000000002EDC: 7EC4052F
	s_nop 3                                                    // 000000002EE0: BF800003

0000000000002ee4 <label_0039>:
	s_mov_b32 s4, 1                                            // 000000002EE4: BE840081
	v_cvt_f32_u32_e32 v44, s97                                 // 000000002EE8: 7E580C61
	s_sub_i32 s60, 0, s97                                      // 000000002EEC: 81BC6180
	v_rcp_iflag_f32_e32 v44, v44                               // 000000002EF0: 7E58472C
	s_nop 0                                                    // 000000002EF4: BF800000
	v_mul_f32_e32 v44, 0x4f7ffffe, v44                         // 000000002EF8: 0A5858FF 4F7FFFFE
	v_cvt_u32_f32_e32 v44, v44                                 // 000000002F00: 7E580F2C
	v_mul_lo_u32 v45, s60, v44                                 // 000000002F04: D285002D 0002583C
	v_mul_hi_u32 v45, v44, v45                                 // 000000002F0C: D286002D 00025B2C
	v_add_u32_e32 v44, v44, v45                                // 000000002F14: 68585B2C
	v_mul_hi_u32 v44, s99, v44                                 // 000000002F18: D286002C 00025863
	v_mul_lo_u32 v45, v44, s97                                 // 000000002F20: D285002D 0000C32C
	v_sub_u32_e32 v47, s99, v45                                // 000000002F28: 6A5E5A63
	v_add_u32_e32 v46, 1, v44                                  // 000000002F2C: 685C5881
	v_cmp_le_u32_e32 vcc, s97, v47                             // 000000002F30: 7D965E61
	v_subrev_u32_e32 v45, s97, v47                             // 000000002F34: 6C5A5E61
	s_nop 0                                                    // 000000002F38: BF800000
	v_cndmask_b32_e32 v44, v44, v46, vcc                       // 000000002F3C: 00585D2C
	v_cndmask_b32_e32 v47, v47, v45, vcc                       // 000000002F40: 005E5B2F
	v_add_u32_e32 v45, 1, v44                                  // 000000002F44: 685A5881
	v_cmp_le_u32_e32 vcc, s97, v47                             // 000000002F48: 7D965E61
	s_nop 1                                                    // 000000002F4C: BF800001
	v_cndmask_b32_e32 v47, v44, v45, vcc                       // 000000002F50: 005E5B2C
	s_nop 3                                                    // 000000002F54: BF800003
	v_readfirstlane_b32 s3, v47                                // 000000002F58: 7E06052F
	s_nop 3                                                    // 000000002F5C: BF800003
	s_mul_i32 s60, s3, s97                                     // 000000002F60: 923C6103
	s_sub_u32 s2, s99, s60                                     // 000000002F64: 80823C63
	s_mul_i32 s60, s98, s100                                   // 000000002F68: 923C6462
	s_add_i32 s3, s3, s60                                      // 000000002F6C: 81033C03

0000000000002f70 <label_005C>:
	s_and_b32 s1, s1, 0xffff                                   // 000000002F70: 8601FF01 0000FFFF
	s_load_dwordx2 s[8:9], s[0:1], 0x0                         // 000000002F78: C0060200 00000000
	s_load_dwordx2 s[20:21], s[0:1], 0x10                      // 000000002F80: C0060500 00000010
	s_load_dwordx2 s[24:25], s[0:1], 0x20                      // 000000002F88: C0060600 00000020
	s_load_dwordx2 s[50:51], s[0:1], 0x30                      // 000000002F90: C0060C80 00000030
	s_load_dwordx2 s[12:13], s[0:1], 0x40                      // 000000002F98: C0060300 00000040
	s_load_dwordx2 s[28:29], s[0:1], 0x50                      // 000000002FA0: C0060700 00000050
	s_load_dwordx2 s[32:33], s[0:1], 0x60                      // 000000002FA8: C0060800 00000060
	s_load_dwordx2 s[16:17], s[0:1], 0x70                      // 000000002FB0: C0060400 00000070
	s_load_dwordx2 s[36:37], s[0:1], 0x80                      // 000000002FB8: C0060900 00000080
	s_load_dwordx2 s[44:45], s[0:1], 0x90                      // 000000002FC0: C0060B00 00000090
	s_load_dwordx2 s[40:41], s[0:1], 0xa0                      // 000000002FC8: C0060A00 000000A0
	s_load_dwordx2 s[46:47], s[0:1], 0xb0                      // 000000002FD0: C0060B80 000000B0
	s_load_dword s64, s[0:1], 0xc0                             // 000000002FD8: C0021000 000000C0
	s_load_dword s65, s[0:1], 0xd0                             // 000000002FE0: C0021040 000000D0
	s_load_dword s67, s[0:1], 0xf0                             // 000000002FE8: C00210C0 000000F0
	s_load_dword s68, s[0:1], 0x100                            // 000000002FF0: C0021100 00000100
	s_load_dword s69, s[0:1], 0x110                            // 000000002FF8: C0021140 00000110
	s_load_dword s70, s[0:1], 0x120                            // 000000003000: C0021180 00000120
	s_load_dword s71, s[0:1], 0x130                            // 000000003008: C00211C0 00000130
	s_load_dword s72, s[0:1], 0x140                            // 000000003010: C0021200 00000140
	s_load_dword s73, s[0:1], 0x150                            // 000000003018: C0021240 00000150
	s_load_dword s74, s[0:1], 0x160                            // 000000003020: C0021280 00000160
	s_load_dword s75, s[0:1], 0x170                            // 000000003028: C00212C0 00000170
	s_load_dword s76, s[0:1], 0x180                            // 000000003030: C0021300 00000180
	s_mov_b32 s2, s2                                           // 000000003038: BE820002
	s_mov_b32 s3, s3                                           // 00000000303C: BE830003
	s_mov_b32 s4, s4                                           // 000000003040: BE840004
	s_waitcnt lgkmcnt(0)                                       // 000000003044: BF8CC07F
	s_and_b32 s51, s51, 0xffff                                 // 000000003048: 8633FF33 0000FFFF
	s_load_dword s66, s[50:51], 0x4                            // 000000003050: C0021099 00000004
	s_load_dword s50, s[50:51], 0x0                            // 000000003058: C0020C99 00000000
	s_waitcnt lgkmcnt(0)                                       // 000000003060: BF8CC07F
	s_and_b32 s45, s45, 0xffff                                 // 000000003064: 862DFF2D 0000FFFF
	s_and_b32 s47, s47, 0xffff                                 // 00000000306C: 862FFF2F 0000FFFF
	s_and_b32 s9, s9, 0xffff                                   // 000000003074: 8609FF09 0000FFFF
	s_mul_i32 s60, s66, s68                                    // 00000000307C: 923C4442
	s_mul_i32 s61, s66, 4                                      // 000000003080: 923D8442
	s_mov_b32 s22, s60                                         // 000000003084: BE96003C
	s_mov_b32 s26, -16                                         // 000000003088: BE9A00D0
	s_mov_b32 s14, -16                                         // 00000000308C: BE8E00D0
	s_mov_b32 s42, -16                                         // 000000003090: BEAA00D0
	s_mov_b32 s30, -16                                         // 000000003094: BE9E00D0
	s_mov_b32 s34, -16                                         // 000000003098: BEA200D0
	s_mov_b32 s38, -16                                         // 00000000309C: BEA600D0
	s_mov_b32 s18, -16                                         // 0000000030A0: BE9200D0
	s_mul_i32 s60, s66, s71                                    // 0000000030A4: 923C4742
	s_mov_b32 s10, s60                                         // 0000000030A8: BE8A003C
	s_mov_b32 s23, 0x20000                                     // 0000000030AC: BE9700FF 00020000
	s_mov_b32 s27, 0x20000                                     // 0000000030B4: BE9B00FF 00020000
	s_mov_b32 s15, 0x20000                                     // 0000000030BC: BE8F00FF 00020000
	s_mov_b32 s43, 0x20000                                     // 0000000030C4: BEAB00FF 00020000
	s_mov_b32 s31, 0x20000                                     // 0000000030CC: BE9F00FF 00020000
	s_mov_b32 s35, 0x20000                                     // 0000000030D4: BEA300FF 00020000
	s_mov_b32 s39, 0x20000                                     // 0000000030DC: BEA700FF 00020000
	s_mov_b32 s19, 0x20000                                     // 0000000030E4: BE9300FF 00020000
	s_mov_b32 s11, 0x20000                                     // 0000000030EC: BE8B00FF 00020000
	s_and_b32 s21, s21, 0xffff                                 // 0000000030F4: 8615FF15 0000FFFF
	s_and_b32 s25, s25, 0xffff                                 // 0000000030FC: 8619FF19 0000FFFF
	s_and_b32 s13, s13, 0xffff                                 // 000000003104: 860DFF0D 0000FFFF
	s_and_b32 s41, s41, 0xffff                                 // 00000000310C: 8629FF29 0000FFFF
	s_and_b32 s29, s29, 0xffff                                 // 000000003114: 861DFF1D 0000FFFF
	s_and_b32 s33, s33, 0xffff                                 // 00000000311C: 8621FF21 0000FFFF
	s_and_b32 s37, s37, 0xffff                                 // 000000003124: 8625FF25 0000FFFF
	s_and_b32 s17, s17, 0xffff                                 // 00000000312C: 8611FF11 0000FFFF
	s_or_b32 s21, s21, 0x40000                                 // 000000003134: 8715FF15 00040000
	s_or_b32 s25, s25, 0x40000                                 // 00000000313C: 8719FF19 00040000
	s_or_b32 s13, s13, 0x40000                                 // 000000003144: 870DFF0D 00040000
	s_or_b32 s41, s41, 0x40000                                 // 00000000314C: 8729FF29 00040000
	s_or_b32 s29, s29, 0x40000                                 // 000000003154: 871DFF1D 00040000
	s_or_b32 s33, s33, 0x40000                                 // 00000000315C: 8721FF21 00040000
	s_or_b32 s37, s37, 0x40000                                 // 000000003164: 8725FF25 00040000
	s_or_b32 s17, s17, 0x40000                                 // 00000000316C: 8711FF11 00040000
	v_accvgpr_write_b32 a63, 0                                 // 000000003174: D3D9403F 18000080
	v_mov_b32_e32 v191, 0                                      // 00000000317C: 7F7E0280
	s_waitcnt lgkmcnt(0)                                       // 000000003180: BF8CC07F
	s_mul_i32 s60, s3, 32                                      // 000000003184: 923CA003
	s_cmp_lt_i32 s60, s50                                      // 000000003188: BF04323C
	s_cbranch_scc0 label_0F73                                  // 00000000318C: BF840E8F
	s_mov_b32 s80, 0                                           // 000000003190: BED00080
	s_mov_b32 s81, s64                                         // 000000003194: BED10040
	s_mul_i32 s60, s3, 4                                       // 000000003198: 923C8403
	s_add_u32 s46, s60, s46                                    // 00000000319C: 802E2E3C
	s_addc_u32 s47, 0, s47                                     // 0000000031A0: 822F2F80
	s_load_dword s5, s[46:47], 0x0                             // 0000000031A4: C0020157 00000000
	s_mul_i32 s60, s3, 32                                      // 0000000031AC: 923CA003
	s_mul_i32 s60, 4, s60                                      // 0000000031B0: 923C3C84
	v_and_b32_e32 v44, 15, v0                                  // 0000000031B4: 2658008F
	v_lshlrev_b32_e32 v44, 2, v44                              // 0000000031B8: 24585882
	v_add_u32_e32 v44, s60, v44                                // 0000000031BC: 6858583C
	v_mov_b32_e32 v45, 0                                       // 0000000031C0: 7E5A0280
	global_load_dword v7, v44, s[44:45]                        // 0000000031C4: DC508000 072C002C
	v_add_u32_e32 v44, 64, v44                                 // 0000000031CC: 685858C0
	global_load_dword v8, v44, s[44:45]                        // 0000000031D0: DC508000 082C002C
	s_mul_i32 s60, s3, 32                                      // 0000000031D8: 923CA003
	s_lshr_b32 s61, s7, 1                                      // 0000000031DC: 8F3D8107
	s_mul_i32 s61, s61, 8                                      // 0000000031E0: 923D883D
	s_add_u32 s60, s61, s60                                    // 0000000031E4: 803C3C3D
	s_and_b32 s61, s7, 1                                       // 0000000031E8: 863D8107
	s_mul_i32 s61, s61, 2                                      // 0000000031EC: 923D823D
	s_add_u32 s60, s61, s60                                    // 0000000031F0: 803C3C3D
	s_mul_i32 s60, 4, s60                                      // 0000000031F4: 923C3C84
	s_add_u32 s44, s60, s44                                    // 0000000031F8: 802C2C3C
	s_addc_u32 s45, 0, s45                                     // 0000000031FC: 822D2D80
	s_load_dword s82, s[44:45], 0x0                            // 000000003200: C0021496 00000000
	s_load_dword s83, s[44:45], 0x4                            // 000000003208: C00214D6 00000004
	s_load_dword s84, s[44:45], 0x10                           // 000000003210: C0021516 00000010
	s_load_dword s85, s[44:45], 0x14                           // 000000003218: C0021556 00000014
	s_load_dword s86, s[44:45], 0x40                           // 000000003220: C0021596 00000040
	s_load_dword s87, s[44:45], 0x44                           // 000000003228: C00215D6 00000044
	s_load_dword s88, s[44:45], 0x50                           // 000000003230: C0021616 00000050
	s_load_dword s89, s[44:45], 0x54                           // 000000003238: C0021656 00000054
	s_waitcnt lgkmcnt(0)                                       // 000000003240: BF8CC07F
	s_and_b32 s82, s82, 0xffffff                               // 000000003244: 8652FF52 00FFFFFF
	s_mul_i32 s62, s82, s68                                    // 00000000324C: 923E4452
	s_lshl_b32 s60, 0xff, 0                                    // 000000003250: 8E3C80FF 000000FF
	s_mov_b32 s61, 0                                           // 000000003258: BEBD0080
	s_mov_b64 exec, s[60:61]                                   // 00000000325C: BEFE013C
	v_mov_b32_e32 v32, s62                                     // 000000003260: 7E40023E
	s_and_b32 s83, s83, 0xffffff                               // 000000003264: 8653FF53 00FFFFFF
	s_mul_i32 s62, s83, s68                                    // 00000000326C: 923E4453
	s_lshl_b32 s60, 0xff, 8                                    // 000000003270: 8E3C88FF 000000FF
	s_mov_b64 exec, s[60:61]                                   // 000000003278: BEFE013C
	v_mov_b32_e32 v32, s62                                     // 00000000327C: 7E40023E
	s_and_b32 s84, s84, 0xffffff                               // 000000003280: 8654FF54 00FFFFFF
	s_mul_i32 s62, s84, s68                                    // 000000003288: 923E4454
	s_lshl_b32 s60, 0xff, 16                                   // 00000000328C: 8E3C90FF 000000FF
	s_mov_b64 exec, s[60:61]                                   // 000000003294: BEFE013C
	v_mov_b32_e32 v32, s62                                     // 000000003298: 7E40023E
	s_and_b32 s85, s85, 0xffffff                               // 00000000329C: 8655FF55 00FFFFFF
	s_mul_i32 s62, s85, s68                                    // 0000000032A4: 923E4455
	s_lshl_b32 s60, 0xff, 24                                   // 0000000032A8: 8E3C98FF 000000FF
	s_mov_b64 exec, s[60:61]                                   // 0000000032B0: BEFE013C
	v_mov_b32_e32 v32, s62                                     // 0000000032B4: 7E40023E
	s_and_b32 s86, s86, 0xffffff                               // 0000000032B8: 8656FF56 00FFFFFF
	s_mul_i32 s62, s86, s68                                    // 0000000032C0: 923E4456
	s_lshl_b32 s61, 0xff, 0                                    // 0000000032C4: 8E3D80FF 000000FF
	s_mov_b32 s60, 0                                           // 0000000032CC: BEBC0080
	s_mov_b64 exec, s[60:61]                                   // 0000000032D0: BEFE013C
	v_mov_b32_e32 v32, s62                                     // 0000000032D4: 7E40023E
	s_and_b32 s87, s87, 0xffffff                               // 0000000032D8: 8657FF57 00FFFFFF
	s_mul_i32 s62, s87, s68                                    // 0000000032E0: 923E4457
	s_lshl_b32 s61, 0xff, 8                                    // 0000000032E4: 8E3D88FF 000000FF
	s_mov_b64 exec, s[60:61]                                   // 0000000032EC: BEFE013C
	v_mov_b32_e32 v32, s62                                     // 0000000032F0: 7E40023E
	s_and_b32 s88, s88, 0xffffff                               // 0000000032F4: 8658FF58 00FFFFFF
	s_mul_i32 s62, s88, s68                                    // 0000000032FC: 923E4458
	s_lshl_b32 s61, 0xff, 16                                   // 000000003300: 8E3D90FF 000000FF
	s_mov_b64 exec, s[60:61]                                   // 000000003308: BEFE013C
	v_mov_b32_e32 v32, s62                                     // 00000000330C: 7E40023E
	s_and_b32 s89, s89, 0xffffff                               // 000000003310: 8659FF59 00FFFFFF
	s_mul_i32 s62, s89, s68                                    // 000000003318: 923E4459
	s_lshl_b32 s61, 0xff, 24                                   // 00000000331C: 8E3D98FF 000000FF
	s_mov_b64 exec, s[60:61]                                   // 000000003324: BEFE013C
	v_mov_b32_e32 v32, s62                                     // 000000003328: 7E40023E
	s_mov_b32 s60, -1                                          // 00000000332C: BEBC00C1
	s_mov_b32 s61, -1                                          // 000000003330: BEBD00C1
	s_mov_b64 exec, s[60:61]                                   // 000000003334: BEFE013C
	v_and_b32_e64 v44, v0, 7                                   // 000000003338: D113002C 00010F00
	v_lshlrev_b32_e32 v44, 4, v44                              // 000000003340: 24585884
	v_add_u32_e32 v32, v32, v44                                // 000000003344: 68405920
	s_mov_b32 s62, 0x80                                        // 000000003348: BEBE00FF 00000080
	v_add_u32_e64 v33, v32, s62                                // 000000003350: D1340021 00007D20
	v_lshlrev_b32_e32 v44, 2, v0                               // 000000003358: 24580082
	s_mul_i32 s60, s82, s71                                    // 00000000335C: 923C4752
	v_add_u32_e64 v80, v44, s60                                // 000000003360: D1340050 0000792C
	v_mov_b32_e32 v81, 0                                       // 000000003368: 7EA20280
	s_mul_i32 s60, s83, s71                                    // 00000000336C: 923C4753
	v_add_u32_e64 v82, v44, s60                                // 000000003370: D1340052 0000792C
	v_mov_b32_e32 v83, 0                                       // 000000003378: 7EA60280
	s_mul_i32 s60, s84, s71                                    // 00000000337C: 923C4754
	v_add_u32_e64 v84, v44, s60                                // 000000003380: D1340054 0000792C
	v_mov_b32_e32 v85, 0                                       // 000000003388: 7EAA0280
	s_mul_i32 s60, s85, s71                                    // 00000000338C: 923C4755
	v_add_u32_e64 v86, v44, s60                                // 000000003390: D1340056 0000792C
	v_mov_b32_e32 v87, 0                                       // 000000003398: 7EAE0280
	s_mul_i32 s60, s86, s71                                    // 00000000339C: 923C4756
	v_add_u32_e64 v88, v44, s60                                // 0000000033A0: D1340058 0000792C
	v_mov_b32_e32 v89, 0                                       // 0000000033A8: 7EB20280
	s_mul_i32 s60, s87, s71                                    // 0000000033AC: 923C4757
	v_add_u32_e64 v90, v44, s60                                // 0000000033B0: D134005A 0000792C
	v_mov_b32_e32 v91, 0                                       // 0000000033B8: 7EB60280
	s_mul_i32 s60, s88, s71                                    // 0000000033BC: 923C4758
	v_add_u32_e64 v92, v44, s60                                // 0000000033C0: D134005C 0000792C
	v_mov_b32_e32 v93, 0                                       // 0000000033C8: 7EBA0280
	s_mul_i32 s60, s89, s71                                    // 0000000033CC: 923C4759
	v_add_u32_e64 v94, v44, s60                                // 0000000033D0: D134005E 0000792C
	v_mov_b32_e32 v95, 0                                       // 0000000033D8: 7EBE0280
	s_mul_i32 s60, s7, 0x420                                   // 0000000033DC: 923CFF07 00000420
	s_add_u32 s50, 0, s60                                      // 0000000033E4: 80323C80
	s_add_u32 s51, 0x2500, s50                                 // 0000000033E8: 803332FF 00002500
	v_and_b32_e32 v44, 15, v0                                  // 0000000033F0: 2658008F
	v_lshrrev_b32_e32 v45, 3, v44                              // 0000000033F4: 205A5883
	v_mul_lo_u32 v45, 2, v45                                   // 0000000033F8: D285002D 00025A82
	v_and_b32_e32 v44, 3, v0                                   // 000000003400: 26580083
	v_lshrrev_b32_e32 v46, 1, v44                              // 000000003404: 205C5881
	v_add_u32_e32 v44, v45, v46                                // 000000003408: 68585D2D
	v_mul_i32_i24_e32 v2, 0x420, v44                           // 00000000340C: 0C0458FF 00000420
	v_and_b32_e32 v44, 7, v0                                   // 000000003414: 26580087
	v_lshrrev_b32_e32 v45, 2, v44                              // 000000003418: 205A5882
	v_mul_i32_i24_e32 v45, 0x100, v45                          // 00000000341C: 0C5A5AFF 00000100
	v_and_b32_e32 v44, 1, v0                                   // 000000003424: 26580081
	v_mul_i32_i24_e32 v46, 0x80, v44                           // 000000003428: 0C5C58FF 00000080
	v_add_u32_e32 v2, v45, v2                                  // 000000003430: 6804052D
	v_add_u32_e32 v2, v46, v2                                  // 000000003434: 6804052E
	v_lshrrev_b32_e32 v44, 4, v0                               // 000000003438: 20580084
	v_mul_lo_u32 v44, 16, v44                                  // 00000000343C: D285002C 00025890
	v_add_u32_e32 v2, v44, v2                                  // 000000003444: 6804052C
	s_mul_i32 s60, s2, 0x80                                    // 000000003448: 923CFF02 00000080
	s_mul_i32 s60, s60, s69                                    // 000000003450: 923C453C
	s_mul_i32 s61, s5, s72                                     // 000000003454: 923D4805
	s_add_u32 s60, s61, s60                                    // 000000003458: 803C3C3D
	s_add_u32 s24, s60, s24                                    // 00000000345C: 8018183C
	s_addc_u32 s25, 0, s25                                     // 000000003460: 82191980
	s_mul_i32 s60, s7, 16                                      // 000000003464: 923C9007
	s_mul_i32 s60, s60, s69                                    // 000000003468: 923C453C
	v_lshlrev_b32_e32 v34, 4, v0                               // 00000000346C: 24440084
	v_add_u32_e32 v34, s60, v34                                // 000000003470: 6844443C
	s_mul_i32 s60, 64, s69                                     // 000000003474: 923C45C0
	v_add_u32_e32 v35, s60, v34                                // 000000003478: 6846443C
	s_mov_b32 s92, s24                                         // 00000000347C: BEDC0018
	s_mov_b32 s93, s25                                         // 000000003480: BEDD0019
	s_mov_b32 s94, s26                                         // 000000003484: BEDE001A
	s_mov_b32 s95, s27                                         // 000000003488: BEDF001B
	s_mul_i32 s60, s69, s65                                    // 00000000348C: 923C4145
	s_add_u32 s92, s60, s92                                    // 000000003490: 805C5C3C
	s_addc_u32 s93, 0, s93                                     // 000000003494: 825D5D80
	s_mul_i32 s60, s2, 0x800                                   // 000000003498: 923CFF02 00000800
	s_mul_i32 s61, s5, s73                                     // 0000000034A0: 923D4905
	s_add_u32 s60, s61, s60                                    // 0000000034A4: 803C3C3D
	s_add_u32 s12, s60, s12                                    // 0000000034A8: 800C0C3C
	s_addc_u32 s13, 0, s13                                     // 0000000034AC: 820D0D80
	s_mul_i32 s60, s7, 16                                      // 0000000034B0: 923C9007
	s_mul_i32 s60, s60, s70                                    // 0000000034B4: 923C463C
	v_lshlrev_b32_e32 v36, 4, v0                               // 0000000034B8: 24480084
	v_add_u32_e32 v36, s60, v36                                // 0000000034BC: 6848483C
	s_mul_i32 s60, 64, s70                                     // 0000000034C0: 923C46C0
	v_add_u32_e32 v37, s60, v36                                // 0000000034C4: 684A483C
	v_add_u32_e32 v38, s60, v37                                // 0000000034C8: 684C4A3C
	v_add_u32_e32 v39, s60, v38                                // 0000000034CC: 684E4C3C
	s_mul_i32 s60, s70, 0x100                                  // 0000000034D0: 923CFF46 00000100
	s_mov_b32 s78, 0x800                                       // 0000000034D8: BECE00FF 00000800
	s_mul_i32 s61, s78, 0                                      // 0000000034E0: 923D804E
	s_sub_u32 s56, s60, s61                                    // 0000000034E4: 80B83D3C
	s_mul_i32 s60, s3, 32                                      // 0000000034E8: 923CA003
	s_mul_i32 s60, 4, s60                                      // 0000000034EC: 923C3C84
	s_add_u32 s40, s60, s40                                    // 0000000034F0: 8028283C
	s_addc_u32 s41, 0, s41                                     // 0000000034F4: 82292980
	v_and_b32_e32 v44, 15, v0                                  // 0000000034F8: 2658008F
	v_lshlrev_b32_e32 v9, 2, v44                               // 0000000034FC: 24125882
	v_add_u32_e32 v10, 64, v9                                  // 000000003500: 681412C0
	s_lshr_b32 s60, s64, 7                                     // 000000003504: 8F3C8740
	s_mul_i32 s61, s60, 4                                      // 000000003508: 923D843C
	v_and_b32_e64 v11, v0, 0                                   // 00000000350C: D113000B 00010100
	v_mul_lo_u32 v11, v11, s61                                 // 000000003514: D285000B 00007B0B
	v_and_b32_e64 v44, v0, 3                                   // 00000000351C: D113002C 00010700
	v_lshrrev_b32_e32 v44, 1, v44                              // 000000003524: 20585881
	v_mul_lo_u32 v44, 4, v44                                   // 000000003528: D285002C 00025884
	v_add_u32_e32 v11, v11, v44                                // 000000003530: 6816590B
	s_lshr_b32 s60, s65, 7                                     // 000000003534: 8F3C8741
	s_mul_i32 s60, s60, s61                                    // 000000003538: 923C3D3C
	v_add_u32_e64 v13, v11, s60                                // 00000000353C: D134000D 0000790B
	s_mov_b32 s4, 8                                            // 000000003544: BE840088
	s_mul_i32 s60, s2, 1                                       // 000000003548: 923C8102
	s_mul_i32 s60, s60, s61                                    // 00000000354C: 923C3D3C
	s_mul_i32 s61, s5, s74                                     // 000000003550: 923D4A05
	s_add_u32 s61, s61, s60                                    // 000000003554: 803D3C3D
	s_add_u32 s32, s61, s32                                    // 000000003558: 8020203D
	s_addc_u32 s33, 0, s33                                     // 00000000355C: 82212180
	s_lshr_b32 s60, s65, 7                                     // 000000003560: 8F3C8741
	s_mul_i32 s61, s60, 4                                      // 000000003564: 923D843C
	s_mul_i32 s60, s2, 1                                       // 000000003568: 923C8102
	s_mul_i32 s60, s60, 4                                      // 00000000356C: 923C843C
	v_and_b32_e64 v6, v0, 1                                    // 000000003570: D1130006 00010300
	v_mul_lo_u32 v6, v6, s61                                   // 000000003578: D2850006 00007B06
	v_and_b32_e64 v44, v0, 1                                   // 000000003580: D113002C 00010300
	v_lshrrev_b32_e32 v44, 1, v44                              // 000000003588: 20585881
	v_mul_lo_u32 v44, 4, v44                                   // 00000000358C: D285002C 00025884
	v_add_i32 v6, v6, v44                                      // 000000003594: D29C0006 00025906
	v_add_i32 v6, v6, s60                                      // 00000000359C: D29C0006 00007906
	s_mul_i32 s60, s5, s75                                     // 0000000035A4: 923C4B05
	s_add_u32 s16, s60, s16                                    // 0000000035A8: 8010103C
	s_addc_u32 s17, 0, s17                                     // 0000000035AC: 82111180
	s_mov_b32 s57, 0x100                                       // 0000000035B0: BEB900FF 00000100
	s_mov_b32 s58, 0x1000                                      // 0000000035B8: BEBA00FF 00001000
	s_mul_i32 s79, 2, s61                                      // 0000000035C0: 924F3D82
	s_mov_b32 s59, 0                                           // 0000000035C4: BEBB0080
	s_mov_b32 s90, s58                                         // 0000000035C8: BEDA003A
	s_mov_b32 s52, 0x7060302                                   // 0000000035CC: BEB400FF 07060302
	s_mov_b32 s53, 0x400                                       // 0000000035D4: BEB500FF 00000400
	s_mov_b32 s54, 0x40100                                     // 0000000035DC: BEB600FF 00040100
	s_mov_b32 s55, 0x4020100                                   // 0000000035E4: BEB700FF 04020100
	s_mov_b32 s6, 0x3fb8aa3b                                   // 0000000035EC: BE8600FF 3FB8AA3B
	s_mov_b32 s77, 0xbd92220c                                  // 0000000035F4: BECD00FF BD92220C
	s_mov_b32 m0, s50                                          // 0000000035FC: BEFC0032
	v_mov_b32_e32 v1, 0xbfcc4231                               // 000000003600: 7E0202FF BFCC4231
	v_mov_b32_e32 v41, 0xffff0000                              // 000000003608: 7E5202FF FFFF0000
	v_mov_b32_e32 v42, 0x7fff0000                              // 000000003610: 7E5402FF 7FFF0000
	v_mov_b32_e32 v43, 0x7fff                                  // 000000003618: 7E5602FF 00007FFF
	s_waitcnt vmcnt(0) expcnt(0) lgkmcnt(0)                    // 000000003620: BF8C0000
	v_and_b32_e32 v7, 0xffffff, v7                             // 000000003624: 260E0EFF 00FFFFFF
	v_and_b32_e32 v8, 0xffffff, v8                             // 00000000362C: 261010FF 00FFFFFF
	v_lshlrev_b32_e32 v7, 2, v7                                // 000000003634: 240E0E82
	v_lshlrev_b32_e32 v8, 2, v8                                // 000000003638: 24101082
	s_lshr_b32 s60, s7, 1                                      // 00000000363C: 8F3C8107
	s_lshl_b32 s3, s66, 2                                      // 000000003640: 8E038242
	s_mul_i32 s60, s60, s3                                     // 000000003644: 923C033C
	s_add_u32 s28, s28, s60                                    // 000000003648: 801C3C1C
	s_addc_u32 s29, 0, s29                                     // 00000000364C: 821D1D80
	s_mov_b32 s30, s3                                          // 000000003650: BE9E0003
	s_lshl_b32 s3, s3, 1                                       // 000000003654: 8E038103
	s_and_b32 s61, s7, 1                                       // 000000003658: 863D8107
	s_cmp_eq_u32 s61, 1                                        // 00000000365C: BF06813D
	s_cselect_b32 s60, 0, 1                                    // 000000003660: 853C8180
	v_mul_lo_u32 v44, v7, s60                                  // 000000003664: D285002C 00007907
	v_mul_lo_u32 v45, v8, s61                                  // 00000000366C: D285002D 00007B08
	v_add_u32_e32 v44, v44, v45                                // 000000003674: 68585B2C
	v_mov_b32_e32 v7, v44                                      // 000000003678: 7E0E032C
	s_mul_i32 s60, s7, 0x100                                   // 00000000367C: 923CFF07 00000100
	s_sub_u32 s61, 4, s7                                       // 000000003684: 80BD0784
	s_mul_i32 s61, s61, 0x420                                  // 000000003688: 923DFF3D 00000420
	s_add_u32 s76, s60, s61                                    // 000000003690: 804C3D3C
	v_lshlrev_b32_e32 v3, 2, v0                                // 000000003694: 24060082
	buffer_load_dword v23, v11, s[32:35], 0 offen              // 000000003698: E0501000 8008170B
	buffer_load_dword v25, v9, s[40:43], 0 offen               // 0000000036A0: E0501000 800A1909
	buffer_load_dword v26, v10, s[40:43], 0 offen              // 0000000036A8: E0501000 800A1A0A
	buffer_load_dwordx4 v32, s[20:23], 0 offen lds             // 0000000036B0: E05D1000 80050020
	s_add_u32 m0, 0x1080, s50                                  // 0000000036B8: 807C32FF 00001080
	buffer_load_dwordx4 v33, s[20:23], 0 offen lds             // 0000000036C0: E05D1000 80050021
	s_add_u32 m0, m0, s76                                      // 0000000036C8: 807C4C7C
	buffer_load_dword v7, s[28:31], 0 offen lds                // 0000000036CC: E0511000 80070007
	s_add_u32 m0, 0, s51                                       // 0000000036D4: 807C3380
	s_add_u32 s20, s57, s20                                    // 0000000036D8: 80141439
	s_addc_u32 s21, 0, s21                                     // 0000000036DC: 82151580
	s_add_u32 s28, s3, s28                                     // 0000000036E0: 801C1C03
	s_addc_u32 s29, 0, s29                                     // 0000000036E4: 821D1D80
	buffer_load_dwordx4 a[0:3], v34, s[24:27], 0 offen         // 0000000036E8: E05C1000 80860022
	buffer_load_dwordx4 a[4:7], v34, s[24:27], 0 offen offset:1024// 0000000036F0: E05C1400 80860422
	buffer_load_dwordx4 a[8:11], v35, s[24:27], 0 offen        // 0000000036F8: E05C1000 80860823
	buffer_load_dwordx4 a[12:15], v35, s[24:27], 0 offen offset:1024// 000000003700: E05C1400 80860C23
	buffer_load_dwordx4 a[16:19], v34, s[24:27], 0 offen offset:2048// 000000003708: E05C1800 80861022
	buffer_load_dwordx4 a[20:23], v34, s[24:27], 0 offen offset:3072// 000000003710: E05C1C00 80861422
	buffer_load_dwordx4 a[24:27], v35, s[24:27], 0 offen offset:2048// 000000003718: E05C1800 80861823
	buffer_load_dwordx4 a[28:31], v35, s[24:27], 0 offen offset:3072// 000000003720: E05C1C00 80861C23
	s_add_u32 s24, s58, s24                                    // 000000003728: 8018183A
	s_addc_u32 s25, 0, s25                                     // 00000000372C: 82191980
	v_mov_b32_e32 v96, 0                                       // 000000003730: 7EC00280
	v_mov_b32_e32 v64, 0                                       // 000000003734: 7E800280
	v_mov_b32_e32 v97, 0                                       // 000000003738: 7EC20280
	v_mov_b32_e32 v65, 0                                       // 00000000373C: 7E820280
	v_mov_b32_e32 v98, 0                                       // 000000003740: 7EC40280
	v_mov_b32_e32 v66, 0                                       // 000000003744: 7E840280
	v_mov_b32_e32 v99, 0                                       // 000000003748: 7EC60280
	v_mov_b32_e32 v67, 0                                       // 00000000374C: 7E860280
	v_mov_b32_e32 v100, 0                                      // 000000003750: 7EC80280
	v_mov_b32_e32 v68, 0                                       // 000000003754: 7E880280
	v_mov_b32_e32 v101, 0                                      // 000000003758: 7ECA0280
	v_mov_b32_e32 v69, 0                                       // 00000000375C: 7E8A0280
	v_mov_b32_e32 v102, 0                                      // 000000003760: 7ECC0280
	v_mov_b32_e32 v70, 0                                       // 000000003764: 7E8C0280
	v_mov_b32_e32 v103, 0                                      // 000000003768: 7ECE0280
	v_mov_b32_e32 v71, 0                                       // 00000000376C: 7E8E0280
	v_mov_b32_e32 v104, 0                                      // 000000003770: 7ED00280
	v_mov_b32_e32 v72, 0                                       // 000000003774: 7E900280
	v_mov_b32_e32 v105, 0                                      // 000000003778: 7ED20280
	v_mov_b32_e32 v73, 0                                       // 00000000377C: 7E920280
	v_mov_b32_e32 v106, 0                                      // 000000003780: 7ED40280
	v_mov_b32_e32 v74, 0                                       // 000000003784: 7E940280
	v_mov_b32_e32 v107, 0                                      // 000000003788: 7ED60280
	v_mov_b32_e32 v75, 0                                       // 00000000378C: 7E960280
	v_mov_b32_e32 v108, 0                                      // 000000003790: 7ED80280
	v_mov_b32_e32 v76, 0                                       // 000000003794: 7E980280
	v_mov_b32_e32 v109, 0                                      // 000000003798: 7EDA0280
	v_mov_b32_e32 v77, 0                                       // 00000000379C: 7E9A0280
	v_mov_b32_e32 v110, 0                                      // 0000000037A0: 7EDC0280
	v_mov_b32_e32 v78, 0                                       // 0000000037A4: 7E9C0280
	v_mov_b32_e32 v111, 0                                      // 0000000037A8: 7EDE0280
	v_mov_b32_e32 v79, 0                                       // 0000000037AC: 7E9E0280
	v_mov_b32_e32 v112, 0                                      // 0000000037B0: 7EE00280
	v_mov_b32_e32 v80, 0                                       // 0000000037B4: 7EA00280
	v_mov_b32_e32 v113, 0                                      // 0000000037B8: 7EE20280
	v_mov_b32_e32 v81, 0                                       // 0000000037BC: 7EA20280
	v_mov_b32_e32 v114, 0                                      // 0000000037C0: 7EE40280
	v_mov_b32_e32 v82, 0                                       // 0000000037C4: 7EA40280
	v_mov_b32_e32 v115, 0                                      // 0000000037C8: 7EE60280
	v_mov_b32_e32 v83, 0                                       // 0000000037CC: 7EA60280
	v_mov_b32_e32 v116, 0                                      // 0000000037D0: 7EE80280
	v_mov_b32_e32 v84, 0                                       // 0000000037D4: 7EA80280
	v_mov_b32_e32 v117, 0                                      // 0000000037D8: 7EEA0280
	v_mov_b32_e32 v85, 0                                       // 0000000037DC: 7EAA0280
	v_mov_b32_e32 v118, 0                                      // 0000000037E0: 7EEC0280
	v_mov_b32_e32 v86, 0                                       // 0000000037E4: 7EAC0280
	v_mov_b32_e32 v119, 0                                      // 0000000037E8: 7EEE0280
	v_mov_b32_e32 v87, 0                                       // 0000000037EC: 7EAE0280
	v_mov_b32_e32 v120, 0                                      // 0000000037F0: 7EF00280
	v_mov_b32_e32 v88, 0                                       // 0000000037F4: 7EB00280
	v_mov_b32_e32 v121, 0                                      // 0000000037F8: 7EF20280
	v_mov_b32_e32 v89, 0                                       // 0000000037FC: 7EB20280
	v_mov_b32_e32 v122, 0                                      // 000000003800: 7EF40280
	v_mov_b32_e32 v90, 0                                       // 000000003804: 7EB40280
	v_mov_b32_e32 v123, 0                                      // 000000003808: 7EF60280
	v_mov_b32_e32 v91, 0                                       // 00000000380C: 7EB60280
	v_mov_b32_e32 v124, 0                                      // 000000003810: 7EF80280
	v_mov_b32_e32 v92, 0                                       // 000000003814: 7EB80280
	v_mov_b32_e32 v125, 0                                      // 000000003818: 7EFA0280
	v_mov_b32_e32 v93, 0                                       // 00000000381C: 7EBA0280
	v_mov_b32_e32 v126, 0                                      // 000000003820: 7EFC0280
	v_mov_b32_e32 v94, 0                                       // 000000003824: 7EBC0280
	v_mov_b32_e32 v127, 0                                      // 000000003828: 7EFE0280
	v_mov_b32_e32 v95, 0                                       // 00000000382C: 7EBE0280
	v_lshrrev_b32_e32 v44, 4, v0                               // 000000003830: 20580084
	v_mul_lo_u32 v4, 34, v44                                   // 000000003834: D2850004 000258A2
	v_and_b32_e32 v44, 15, v0                                  // 00000000383C: 2658008F
	v_mul_lo_u32 v45, 2, v44                                   // 000000003840: D285002D 00025882
	v_add_u32_e32 v4, v45, v4                                  // 000000003848: 6808092D
	s_mul_i32 s60, s7, 0x88                                    // 00000000384C: 923CFF07 00000088
	v_add_u32_e32 v4, s60, v4                                  // 000000003854: 6808083C
	v_lshlrev_b32_e32 v4, 2, v4                                // 000000003858: 24080882
	v_lshrrev_b32_e32 v44, 1, v0                               // 00000000385C: 20580081
	v_mul_lo_u32 v5, 34, v44                                   // 000000003860: D2850005 000258A2
	v_and_b32_e32 v45, 1, v0                                   // 000000003868: 265A0081
	v_add_u32_e32 v5, v45, v5                                  // 00000000386C: 680A0B2D
	s_mov_b32 s60, 0                                           // 000000003870: BEBC0080
	s_lshr_b32 s61, s7, 1                                      // 000000003874: 8F3D8107
	s_mul_i32 s61, s61, 8                                      // 000000003878: 923D883D
	s_add_u32 s60, s61, s60                                    // 00000000387C: 803C3C3D
	s_and_b32 s61, s7, 1                                       // 000000003880: 863D8107
	s_mul_i32 s61, s61, 2                                      // 000000003884: 923D823D
	s_add_u32 s60, s61, s60                                    // 000000003888: 803C3C3D
	s_mul_i32 s60, 2, s60                                      // 00000000388C: 923C3C82
	v_add_u32_e32 v5, s60, v5                                  // 000000003890: 680A0A3C
	v_lshlrev_b32_e32 v5, 2, v5                                // 000000003894: 240A0A82
	s_waitcnt vmcnt(8)                                         // 000000003898: BF8C0F78
	s_barrier                                                  // 00000000389C: BF8A0000
	ds_read_b128 v[128:131], v2                                // 0000000038A0: D9FE0000 80000002
	ds_read_b128 v[132:135], v2 offset:64                      // 0000000038A8: D9FE0040 84000002
	ds_read_b128 v[136:139], v2 offset:4224                    // 0000000038B0: D9FE1080 88000002
	ds_read_b128 v[140:143], v2 offset:4288                    // 0000000038B8: D9FE10C0 8C000002
	ds_read_b128 v[144:147], v2 offset:512                     // 0000000038C0: D9FE0200 90000002
	ds_read_b128 v[148:151], v2 offset:576                     // 0000000038C8: D9FE0240 94000002
	ds_read_b128 v[152:155], v2 offset:4736                    // 0000000038D0: D9FE1280 98000002
	ds_read_b128 v[156:159], v2 offset:4800                    // 0000000038D8: D9FE12C0 9C000002
	ds_read_b32 v15, v3 offset:8448                            // 0000000038E0: D86C2100 0F000003
	ds_read_b32 v16, v3 offset:8704                            // 0000000038E8: D86C2200 10000003
	ds_read_b32 v17, v3 offset:8960                            // 0000000038F0: D86C2300 11000003
	ds_read_b32 v18, v3 offset:9216                            // 0000000038F8: D86C2400 12000003
	s_cmp_lt_i32 s7, 2                                         // 000000003900: BF048207
	s_cbranch_scc0 label_0871                                  // 000000003904: BF8405AF

0000000000003908 <label_02C2>:
	s_waitcnt vmcnt(6) lgkmcnt(0)                              // 000000003908: BF8C0076
	s_barrier                                                  // 00000000390C: BF8A0000
	v_mfma_f32_16x16x128_f8f6f4 v[112:115], a[0:7], v[128:135], 0// 000000003910: D3AD0070 0A030100
	v_mfma_f32_16x16x128_f8f6f4 v[116:119], a[0:7], v[144:151], 0// 000000003918: D3AD0074 0A032100
	buffer_load_dword v24, v13, s[32:35], 0 offen              // 000000003920: E0501000 8008180D
	buffer_load_dwordx4 a[32:35], v34, s[92:95], 0 offen       // 000000003928: E05C1000 80972022
	buffer_load_dwordx4 a[36:39], v34, s[92:95], 0 offen offset:1024// 000000003930: E05C1400 80972422
	buffer_load_dwordx4 v32, s[20:23], 0 offen lds             // 000000003938: E05D1000 80050020
	s_add_u32 m0, 0x1080, s51                                  // 000000003940: 807C33FF 00001080
	buffer_load_dwordx4 v33, s[20:23], 0 offen lds             // 000000003948: E05D1000 80050021
	s_add_u32 m0, m0, s76                                      // 000000003950: 807C4C7C
	buffer_load_dword v7, s[28:31], 0 offen lds                // 000000003954: E0511000 80070007
	s_add_u32 m0, 0, s50                                       // 00000000395C: 807C3280
	s_waitcnt vmcnt(10)                                        // 000000003960: BF8C0F7A
	v_mfma_f32_16x16x128_f8f6f4 v[120:123], a[8:15], v[128:135], 0// 000000003964: D3AD0078 0A030108
	v_mfma_f32_16x16x128_f8f6f4 v[124:127], a[8:15], v[144:151], 0// 00000000396C: D3AD007C 0A032108
	buffer_load_dwordx4 a[40:43], v35, s[92:95], 0 offen       // 000000003974: E05C1000 80972823
	buffer_load_dwordx4 a[44:47], v35, s[92:95], 0 offen offset:1024// 00000000397C: E05C1400 80972C23
	v_mul_f32_dpp v44, v23, v15 row_newbcast:0 row_mask:0xf bank_mask:0xf// 000000003984: 0A581EFA FF015017
	v_mov_b32_e32 v45, v44                                     // 00000000398C: 7E5A032C
	v_pk_fma_f32 v[96:97], v[112:113], v[44:45], v[96:97]      // 000000003990: D3B04060 1D825970
	v_pk_fma_f32 v[98:99], v[114:115], v[44:45], v[98:99]      // 000000003998: D3B04062 1D8A5972
	v_pk_fma_f32 v[104:105], v[120:121], v[44:45], v[104:105]  // 0000000039A0: D3B04068 1DA25978
	v_pk_fma_f32 v[106:107], v[122:123], v[44:45], v[106:107]  // 0000000039A8: D3B0406A 1DAA597A
	v_mul_f32_dpp v44, v23, v16 row_newbcast:0 row_mask:0xf bank_mask:0xf// 0000000039B0: 0A5820FA FF015017
	v_mov_b32_e32 v45, v44                                     // 0000000039B8: 7E5A032C
	v_pk_fma_f32 v[100:101], v[116:117], v[44:45], v[100:101]  // 0000000039BC: D3B04064 1D925974
	v_pk_fma_f32 v[102:103], v[118:119], v[44:45], v[102:103]  // 0000000039C4: D3B04066 1D9A5976
	v_pk_fma_f32 v[108:109], v[124:125], v[44:45], v[108:109]  // 0000000039CC: D3B0406C 1DB2597C
	v_pk_fma_f32 v[110:111], v[126:127], v[44:45], v[110:111]  // 0000000039D4: D3B0406E 1DBA597E
	s_waitcnt vmcnt(10)                                        // 0000000039DC: BF8C0F7A
	v_mfma_f32_16x16x128_f8f6f4 v[112:115], a[16:23], v[136:143], 0// 0000000039E0: D3AD0070 0A031110
	v_mfma_f32_16x16x128_f8f6f4 v[116:119], a[16:23], v[152:159], 0// 0000000039E8: D3AD0074 0A033110
	buffer_load_dwordx4 a[48:51], v34, s[92:95], 0 offen offset:2048// 0000000039F0: E05C1800 80973022
	buffer_load_dwordx4 a[52:55], v34, s[92:95], 0 offen offset:3072// 0000000039F8: E05C1C00 80973422
	s_waitcnt vmcnt(10)                                        // 000000003A00: BF8C0F7A
	v_mfma_f32_16x16x128_f8f6f4 v[120:123], a[24:31], v[136:143], 0// 000000003A04: D3AD0078 0A031118
	v_mfma_f32_16x16x128_f8f6f4 v[124:127], a[24:31], v[152:159], 0// 000000003A0C: D3AD007C 0A033118
	buffer_load_dwordx4 a[56:59], v35, s[92:95], 0 offen offset:2048// 000000003A14: E05C1800 80973823
	buffer_load_dwordx4 a[60:63], v35, s[92:95], 0 offen offset:3072// 000000003A1C: E05C1C00 80973C23
	v_mul_f32_dpp v44, v23, v17 row_newbcast:2 row_mask:0xf bank_mask:0xf// 000000003A24: 0A5822FA FF015217
	v_mov_b32_e32 v45, v44                                     // 000000003A2C: 7E5A032C
	v_pk_fma_f32 v[96:97], v[112:113], v[44:45], v[96:97]      // 000000003A30: D3B04060 1D825970
	v_pk_fma_f32 v[98:99], v[114:115], v[44:45], v[98:99]      // 000000003A38: D3B04062 1D8A5972
	v_pk_fma_f32 v[104:105], v[120:121], v[44:45], v[104:105]  // 000000003A40: D3B04068 1DA25978
	v_pk_fma_f32 v[106:107], v[122:123], v[44:45], v[106:107]  // 000000003A48: D3B0406A 1DAA597A
	v_mul_f32_dpp v44, v23, v18 row_newbcast:2 row_mask:0xf bank_mask:0xf// 000000003A50: 0A5824FA FF015217
	v_mov_b32_e32 v45, v44                                     // 000000003A58: 7E5A032C
	v_pk_fma_f32 v[100:101], v[116:117], v[44:45], v[100:101]  // 000000003A5C: D3B04064 1D925974
	v_pk_fma_f32 v[102:103], v[118:119], v[44:45], v[102:103]  // 000000003A64: D3B04066 1D9A5976
	v_pk_fma_f32 v[108:109], v[124:125], v[44:45], v[108:109]  // 000000003A6C: D3B0406C 1DB2597C
	v_pk_fma_f32 v[110:111], v[126:127], v[44:45], v[110:111]  // 000000003A74: D3B0406E 1DBA597E
	s_add_u32 s60, 0x100, s80                                  // 000000003A7C: 803C50FF 00000100
	s_cmp_lt_u32 s60, s81                                      // 000000003A84: BF0A513C
	s_cselect_b32 s4, s4, 0                                    // 000000003A88: 85048004
	s_add_u32 s32, s4, s32                                     // 000000003A8C: 80202004
	s_addc_u32 s33, 0, s33                                     // 000000003A90: 82212180
	s_waitcnt vmcnt(9)                                         // 000000003A94: BF8C0F79
	s_barrier                                                  // 000000003A98: BF8A0000
	v_mfma_f32_16x16x128_f8f6f4 v[112:115], a[32:39], v[128:135], 0// 000000003A9C: D3AD0070 0A030120
	v_mfma_f32_16x16x128_f8f6f4 v[116:119], a[32:39], v[144:151], 0// 000000003AA4: D3AD0074 0A032120
	buffer_load_dword v23, v11, s[32:35], 0 offen              // 000000003AAC: E0501000 8008170B
	buffer_load_dwordx4 a[0:3], v34, s[24:27], 0 offen         // 000000003AB4: E05C1000 80860022
	buffer_load_dwordx4 a[4:7], v34, s[24:27], 0 offen offset:1024// 000000003ABC: E05C1400 80860422
	s_waitcnt vmcnt(7)                                         // 000000003AC4: BF8C0F77
	v_mfma_f32_16x16x128_f8f6f4 v[120:123], a[40:47], v[128:135], 0// 000000003AC8: D3AD0078 0A030128
	v_mfma_f32_16x16x128_f8f6f4 v[124:127], a[40:47], v[144:151], 0// 000000003AD0: D3AD007C 0A032128
	buffer_load_dwordx4 a[8:11], v35, s[24:27], 0 offen        // 000000003AD8: E05C1000 80860823
	buffer_load_dwordx4 a[12:15], v35, s[24:27], 0 offen offset:1024// 000000003AE0: E05C1400 80860C23
	v_mul_f32_dpp v44, v24, v15 row_newbcast:0 row_mask:0xf bank_mask:0xf// 000000003AE8: 0A581EFA FF015018
	v_mov_b32_e32 v45, v44                                     // 000000003AF0: 7E5A032C
	v_pk_fma_f32 v[64:65], v[112:113], v[44:45], v[64:65]      // 000000003AF4: D3B04040 1D025970
	v_pk_fma_f32 v[66:67], v[114:115], v[44:45], v[66:67]      // 000000003AFC: D3B04042 1D0A5972
	v_pk_fma_f32 v[72:73], v[120:121], v[44:45], v[72:73]      // 000000003B04: D3B04048 1D225978
	v_pk_fma_f32 v[74:75], v[122:123], v[44:45], v[74:75]      // 000000003B0C: D3B0404A 1D2A597A
	v_mul_f32_dpp v44, v24, v16 row_newbcast:0 row_mask:0xf bank_mask:0xf// 000000003B14: 0A5820FA FF015018
	v_mov_b32_e32 v45, v44                                     // 000000003B1C: 7E5A032C
	v_pk_fma_f32 v[68:69], v[116:117], v[44:45], v[68:69]      // 000000003B20: D3B04044 1D125974
	v_pk_fma_f32 v[70:71], v[118:119], v[44:45], v[70:71]      // 000000003B28: D3B04046 1D1A5976
	v_pk_fma_f32 v[76:77], v[124:125], v[44:45], v[76:77]      // 000000003B30: D3B0404C 1D32597C
	v_pk_fma_f32 v[78:79], v[126:127], v[44:45], v[78:79]      // 000000003B38: D3B0404E 1D3A597E
	s_waitcnt vmcnt(7)                                         // 000000003B40: BF8C0F77
	v_mfma_f32_16x16x128_f8f6f4 v[112:115], a[48:55], v[136:143], 0// 000000003B44: D3AD0070 0A031130
	s_waitcnt lgkmcnt(0)                                       // 000000003B4C: BF8CC07F
	s_barrier                                                  // 000000003B50: BF8A0000
	ds_read_b128 v[160:163], v2 offset:9472                    // 000000003B54: D9FE2500 A0000002
	ds_read_b128 v[164:167], v2 offset:9536                    // 000000003B5C: D9FE2540 A4000002
	ds_read_b128 v[168:171], v2 offset:13696                   // 000000003B64: D9FE3580 A8000002
	ds_read_b128 v[172:175], v2 offset:13760                   // 000000003B6C: D9FE35C0 AC000002
	ds_read_b32 v19, v3 offset:17920                           // 000000003B74: D86C4600 13000003
	ds_read_b32 v20, v3 offset:18176                           // 000000003B7C: D86C4700 14000003
	v_mfma_f32_16x16x128_f8f6f4 v[116:119], a[48:55], v[152:159], 0// 000000003B84: D3AD0074 0A033130
	buffer_load_dwordx4 a[16:19], v34, s[24:27], 0 offen offset:2048// 000000003B8C: E05C1800 80861022
	buffer_load_dwordx4 a[20:23], v34, s[24:27], 0 offen offset:3072// 000000003B94: E05C1C00 80861422
	s_waitcnt vmcnt(7)                                         // 000000003B9C: BF8C0F77
	v_mfma_f32_16x16x128_f8f6f4 v[120:123], a[56:63], v[136:143], 0// 000000003BA0: D3AD0078 0A031138
	ds_read_b128 v[176:179], v2 offset:9984                    // 000000003BA8: D9FE2700 B0000002
	ds_read_b128 v[180:183], v2 offset:10048                   // 000000003BB0: D9FE2740 B4000002
	ds_read_b128 v[184:187], v2 offset:14208                   // 000000003BB8: D9FE3780 B8000002
	ds_read_b128 v[188:191], v2 offset:14272                   // 000000003BC0: D9FE37C0 BC000002
	ds_read_b32 v21, v3 offset:18432                           // 000000003BC8: D86C4800 15000003
	ds_read_b32 v22, v3 offset:18688                           // 000000003BD0: D86C4900 16000003
	v_mfma_f32_16x16x128_f8f6f4 v[124:127], a[56:63], v[152:159], 0// 000000003BD8: D3AD007C 0A033138
	buffer_load_dwordx4 a[24:27], v35, s[24:27], 0 offen offset:2048// 000000003BE0: E05C1800 80861823
	buffer_load_dwordx4 a[28:31], v35, s[24:27], 0 offen offset:3072// 000000003BE8: E05C1C00 80861C23
	v_mul_f32_dpp v44, v24, v17 row_newbcast:2 row_mask:0xf bank_mask:0xf// 000000003BF0: 0A5822FA FF015218
	v_mov_b32_e32 v45, v44                                     // 000000003BF8: 7E5A032C
	v_pk_fma_f32 v[64:65], v[112:113], v[44:45], v[64:65]      // 000000003BFC: D3B04040 1D025970
	v_pk_fma_f32 v[66:67], v[114:115], v[44:45], v[66:67]      // 000000003C04: D3B04042 1D0A5972
	v_pk_fma_f32 v[72:73], v[120:121], v[44:45], v[72:73]      // 000000003C0C: D3B04048 1D225978
	v_pk_fma_f32 v[74:75], v[122:123], v[44:45], v[74:75]      // 000000003C14: D3B0404A 1D2A597A
	v_mul_f32_dpp v44, v24, v18 row_newbcast:2 row_mask:0xf bank_mask:0xf// 000000003C1C: 0A5824FA FF015218
	v_mov_b32_e32 v45, v44                                     // 000000003C24: 7E5A032C
	v_pk_fma_f32 v[68:69], v[116:117], v[44:45], v[68:69]      // 000000003C28: D3B04044 1D125974
	v_pk_fma_f32 v[70:71], v[118:119], v[44:45], v[70:71]      // 000000003C30: D3B04046 1D1A5976
	v_pk_fma_f32 v[76:77], v[124:125], v[44:45], v[76:77]      // 000000003C38: D3B0404C 1D32597C
	v_pk_fma_f32 v[78:79], v[126:127], v[44:45], v[78:79]      // 000000003C40: D3B0404E 1D3A597E
	s_add_u32 s60, 0x200, s80                                  // 000000003C48: 803C50FF 00000200
	s_cmp_lt_u32 s60, s81                                      // 000000003C50: BF0A513C
	s_cselect_b32 s57, s57, 0                                  // 000000003C54: 85398039
	s_cselect_b32 s3, s3, 0                                    // 000000003C58: 85038003
	s_add_u32 s60, 0x200, s80                                  // 000000003C5C: 803C50FF 00000200
	s_cmp_lt_u32 s60, s81                                      // 000000003C64: BF0A513C
	s_cselect_b32 s58, s58, 0                                  // 000000003C68: 853A803A
	s_add_u32 s20, s57, s20                                    // 000000003C6C: 80141439
	s_addc_u32 s21, 0, s21                                     // 000000003C70: 82151580
	s_add_u32 s28, s3, s28                                     // 000000003C74: 801C1C03
	s_addc_u32 s29, 0, s29                                     // 000000003C78: 821D1D80
	s_add_u32 s24, s58, s24                                    // 000000003C7C: 8018183A
	s_addc_u32 s25, 0, s25                                     // 000000003C80: 82191980
	s_add_u32 s92, s90, s92                                    // 000000003C84: 805C5C5A
	s_addc_u32 s93, 0, s93                                     // 000000003C88: 825D5D80
	s_addk_i32 s80, 0x100                                      // 000000003C8C: B7500100
	s_cmp_lt_i32 s80, s81                                      // 000000003C90: BF045150
	s_cbranch_scc0 label_048B                                  // 000000003C94: BF8400E5
	s_waitcnt vmcnt(6) lgkmcnt(0)                              // 000000003C98: BF8C0076
	s_barrier                                                  // 000000003C9C: BF8A0000
	v_mfma_f32_16x16x128_f8f6f4 v[112:115], a[0:7], v[160:167], 0// 000000003CA0: D3AD0070 0A034100
	v_mfma_f32_16x16x128_f8f6f4 v[116:119], a[0:7], v[176:183], 0// 000000003CA8: D3AD0074 0A036100
	buffer_load_dword v24, v13, s[32:35], 0 offen              // 000000003CB0: E0501000 8008180D
	buffer_load_dwordx4 a[32:35], v34, s[92:95], 0 offen       // 000000003CB8: E05C1000 80972022
	buffer_load_dwordx4 a[36:39], v34, s[92:95], 0 offen offset:1024// 000000003CC0: E05C1400 80972422
	buffer_load_dwordx4 v32, s[20:23], 0 offen lds             // 000000003CC8: E05D1000 80050020
	s_add_u32 m0, 0x1080, s50                                  // 000000003CD0: 807C32FF 00001080
	buffer_load_dwordx4 v33, s[20:23], 0 offen lds             // 000000003CD8: E05D1000 80050021
	s_add_u32 m0, m0, s76                                      // 000000003CE0: 807C4C7C
	buffer_load_dword v7, s[28:31], 0 offen lds                // 000000003CE4: E0511000 80070007
	s_add_u32 m0, 0, s51                                       // 000000003CEC: 807C3380
	s_waitcnt vmcnt(10)                                        // 000000003CF0: BF8C0F7A
	v_mfma_f32_16x16x128_f8f6f4 v[120:123], a[8:15], v[160:167], 0// 000000003CF4: D3AD0078 0A034108
	v_mfma_f32_16x16x128_f8f6f4 v[124:127], a[8:15], v[176:183], 0// 000000003CFC: D3AD007C 0A036108
	buffer_load_dwordx4 a[40:43], v35, s[92:95], 0 offen       // 000000003D04: E05C1000 80972823
	buffer_load_dwordx4 a[44:47], v35, s[92:95], 0 offen offset:1024// 000000003D0C: E05C1400 80972C23
	v_mul_f32_dpp v44, v23, v19 row_newbcast:0 row_mask:0xf bank_mask:0xf// 000000003D14: 0A5826FA FF015017
	v_mov_b32_e32 v45, v44                                     // 000000003D1C: 7E5A032C
	v_pk_fma_f32 v[96:97], v[112:113], v[44:45], v[96:97]      // 000000003D20: D3B04060 1D825970
	v_pk_fma_f32 v[98:99], v[114:115], v[44:45], v[98:99]      // 000000003D28: D3B04062 1D8A5972
	v_pk_fma_f32 v[104:105], v[120:121], v[44:45], v[104:105]  // 000000003D30: D3B04068 1DA25978
	v_pk_fma_f32 v[106:107], v[122:123], v[44:45], v[106:107]  // 000000003D38: D3B0406A 1DAA597A
	v_mul_f32_dpp v44, v23, v20 row_newbcast:0 row_mask:0xf bank_mask:0xf// 000000003D40: 0A5828FA FF015017
	v_mov_b32_e32 v45, v44                                     // 000000003D48: 7E5A032C
	v_pk_fma_f32 v[100:101], v[116:117], v[44:45], v[100:101]  // 000000003D4C: D3B04064 1D925974
	v_pk_fma_f32 v[102:103], v[118:119], v[44:45], v[102:103]  // 000000003D54: D3B04066 1D9A5976
	v_pk_fma_f32 v[108:109], v[124:125], v[44:45], v[108:109]  // 000000003D5C: D3B0406C 1DB2597C
	v_pk_fma_f32 v[110:111], v[126:127], v[44:45], v[110:111]  // 000000003D64: D3B0406E 1DBA597E
	s_waitcnt vmcnt(10)                                        // 000000003D6C: BF8C0F7A
	v_mfma_f32_16x16x128_f8f6f4 v[112:115], a[16:23], v[168:175], 0// 000000003D70: D3AD0070 0A035110
	v_mfma_f32_16x16x128_f8f6f4 v[116:119], a[16:23], v[184:191], 0// 000000003D78: D3AD0074 0A037110
	buffer_load_dwordx4 a[48:51], v34, s[92:95], 0 offen offset:2048// 000000003D80: E05C1800 80973022
	buffer_load_dwordx4 a[52:55], v34, s[92:95], 0 offen offset:3072// 000000003D88: E05C1C00 80973422
	s_waitcnt vmcnt(10)                                        // 000000003D90: BF8C0F7A
	v_mfma_f32_16x16x128_f8f6f4 v[120:123], a[24:31], v[168:175], 0// 000000003D94: D3AD0078 0A035118
	v_mfma_f32_16x16x128_f8f6f4 v[124:127], a[24:31], v[184:191], 0// 000000003D9C: D3AD007C 0A037118
	buffer_load_dwordx4 a[56:59], v35, s[92:95], 0 offen offset:2048// 000000003DA4: E05C1800 80973823
	buffer_load_dwordx4 a[60:63], v35, s[92:95], 0 offen offset:3072// 000000003DAC: E05C1C00 80973C23
	v_mul_f32_dpp v44, v23, v21 row_newbcast:2 row_mask:0xf bank_mask:0xf// 000000003DB4: 0A582AFA FF015217
	v_mov_b32_e32 v45, v44                                     // 000000003DBC: 7E5A032C
	v_pk_fma_f32 v[96:97], v[112:113], v[44:45], v[96:97]      // 000000003DC0: D3B04060 1D825970
	v_pk_fma_f32 v[98:99], v[114:115], v[44:45], v[98:99]      // 000000003DC8: D3B04062 1D8A5972
	v_pk_fma_f32 v[104:105], v[120:121], v[44:45], v[104:105]  // 000000003DD0: D3B04068 1DA25978
	v_pk_fma_f32 v[106:107], v[122:123], v[44:45], v[106:107]  // 000000003DD8: D3B0406A 1DAA597A
	v_mul_f32_dpp v44, v23, v22 row_newbcast:2 row_mask:0xf bank_mask:0xf// 000000003DE0: 0A582CFA FF015217
	v_mov_b32_e32 v45, v44                                     // 000000003DE8: 7E5A032C
	v_pk_fma_f32 v[100:101], v[116:117], v[44:45], v[100:101]  // 000000003DEC: D3B04064 1D925974
	v_pk_fma_f32 v[102:103], v[118:119], v[44:45], v[102:103]  // 000000003DF4: D3B04066 1D9A5976
	v_pk_fma_f32 v[108:109], v[124:125], v[44:45], v[108:109]  // 000000003DFC: D3B0406C 1DB2597C
	v_pk_fma_f32 v[110:111], v[126:127], v[44:45], v[110:111]  // 000000003E04: D3B0406E 1DBA597E
	s_add_u32 s60, 0x100, s80                                  // 000000003E0C: 803C50FF 00000100
	s_cmp_lt_u32 s60, s81                                      // 000000003E14: BF0A513C
	s_cselect_b32 s4, s4, 0                                    // 000000003E18: 85048004
	s_add_u32 s32, s4, s32                                     // 000000003E1C: 80202004
	s_addc_u32 s33, 0, s33                                     // 000000003E20: 82212180
	s_waitcnt vmcnt(9)                                         // 000000003E24: BF8C0F79
	s_barrier                                                  // 000000003E28: BF8A0000
	v_mfma_f32_16x16x128_f8f6f4 v[112:115], a[32:39], v[160:167], 0// 000000003E2C: D3AD0070 0A034120
	v_mfma_f32_16x16x128_f8f6f4 v[116:119], a[32:39], v[176:183], 0// 000000003E34: D3AD0074 0A036120
	buffer_load_dword v23, v11, s[32:35], 0 offen              // 000000003E3C: E0501000 8008170B
	buffer_load_dwordx4 a[0:3], v34, s[24:27], 0 offen         // 000000003E44: E05C1000 80860022
	buffer_load_dwordx4 a[4:7], v34, s[24:27], 0 offen offset:1024// 000000003E4C: E05C1400 80860422
	s_waitcnt vmcnt(7)                                         // 000000003E54: BF8C0F77
	v_mfma_f32_16x16x128_f8f6f4 v[120:123], a[40:47], v[160:167], 0// 000000003E58: D3AD0078 0A034128
	v_mfma_f32_16x16x128_f8f6f4 v[124:127], a[40:47], v[176:183], 0// 000000003E60: D3AD007C 0A036128
	buffer_load_dwordx4 a[8:11], v35, s[24:27], 0 offen        // 000000003E68: E05C1000 80860823
	buffer_load_dwordx4 a[12:15], v35, s[24:27], 0 offen offset:1024// 000000003E70: E05C1400 80860C23
	v_mul_f32_dpp v44, v24, v19 row_newbcast:0 row_mask:0xf bank_mask:0xf// 000000003E78: 0A5826FA FF015018
	v_mov_b32_e32 v45, v44                                     // 000000003E80: 7E5A032C
	v_pk_fma_f32 v[64:65], v[112:113], v[44:45], v[64:65]      // 000000003E84: D3B04040 1D025970
	v_pk_fma_f32 v[66:67], v[114:115], v[44:45], v[66:67]      // 000000003E8C: D3B04042 1D0A5972
	v_pk_fma_f32 v[72:73], v[120:121], v[44:45], v[72:73]      // 000000003E94: D3B04048 1D225978
	v_pk_fma_f32 v[74:75], v[122:123], v[44:45], v[74:75]      // 000000003E9C: D3B0404A 1D2A597A
	v_mul_f32_dpp v44, v24, v20 row_newbcast:0 row_mask:0xf bank_mask:0xf// 000000003EA4: 0A5828FA FF015018
	v_mov_b32_e32 v45, v44                                     // 000000003EAC: 7E5A032C
	v_pk_fma_f32 v[68:69], v[116:117], v[44:45], v[68:69]      // 000000003EB0: D3B04044 1D125974
	v_pk_fma_f32 v[70:71], v[118:119], v[44:45], v[70:71]      // 000000003EB8: D3B04046 1D1A5976
	v_pk_fma_f32 v[76:77], v[124:125], v[44:45], v[76:77]      // 000000003EC0: D3B0404C 1D32597C
	v_pk_fma_f32 v[78:79], v[126:127], v[44:45], v[78:79]      // 000000003EC8: D3B0404E 1D3A597E
	s_waitcnt vmcnt(7)                                         // 000000003ED0: BF8C0F77
	v_mfma_f32_16x16x128_f8f6f4 v[112:115], a[48:55], v[168:175], 0// 000000003ED4: D3AD0070 0A035130
	s_waitcnt lgkmcnt(0)                                       // 000000003EDC: BF8CC07F
	s_barrier                                                  // 000000003EE0: BF8A0000
	ds_read_b128 v[128:131], v2                                // 000000003EE4: D9FE0000 80000002
	ds_read_b128 v[132:135], v2 offset:64                      // 000000003EEC: D9FE0040 84000002
	ds_read_b128 v[136:139], v2 offset:4224                    // 000000003EF4: D9FE1080 88000002
	ds_read_b128 v[140:143], v2 offset:4288                    // 000000003EFC: D9FE10C0 8C000002
	ds_read_b32 v15, v3 offset:8448                            // 000000003F04: D86C2100 0F000003
	ds_read_b32 v16, v3 offset:8704                            // 000000003F0C: D86C2200 10000003
	v_mfma_f32_16x16x128_f8f6f4 v[116:119], a[48:55], v[184:191], 0// 000000003F14: D3AD0074 0A037130
	buffer_load_dwordx4 a[16:19], v34, s[24:27], 0 offen offset:2048// 000000003F1C: E05C1800 80861022
	buffer_load_dwordx4 a[20:23], v34, s[24:27], 0 offen offset:3072// 000000003F24: E05C1C00 80861422
	s_waitcnt vmcnt(7)                                         // 000000003F2C: BF8C0F77
	v_mfma_f32_16x16x128_f8f6f4 v[120:123], a[56:63], v[168:175], 0// 000000003F30: D3AD0078 0A035138
	ds_read_b128 v[144:147], v2 offset:512                     // 000000003F38: D9FE0200 90000002
	ds_read_b128 v[148:151], v2 offset:576                     // 000000003F40: D9FE0240 94000002
	ds_read_b128 v[152:155], v2 offset:4736                    // 000000003F48: D9FE1280 98000002
	ds_read_b128 v[156:159], v2 offset:4800                    // 000000003F50: D9FE12C0 9C000002
	ds_read_b32 v17, v3 offset:8960                            // 000000003F58: D86C2300 11000003
	ds_read_b32 v18, v3 offset:9216                            // 000000003F60: D86C2400 12000003
	v_mfma_f32_16x16x128_f8f6f4 v[124:127], a[56:63], v[184:191], 0// 000000003F68: D3AD007C 0A037138
	buffer_load_dwordx4 a[24:27], v35, s[24:27], 0 offen offset:2048// 000000003F70: E05C1800 80861823
	buffer_load_dwordx4 a[28:31], v35, s[24:27], 0 offen offset:3072// 000000003F78: E05C1C00 80861C23
	v_mul_f32_dpp v44, v24, v21 row_newbcast:2 row_mask:0xf bank_mask:0xf// 000000003F80: 0A582AFA FF015218
	v_mov_b32_e32 v45, v44                                     // 000000003F88: 7E5A032C
	v_pk_fma_f32 v[64:65], v[112:113], v[44:45], v[64:65]      // 000000003F8C: D3B04040 1D025970
	v_pk_fma_f32 v[66:67], v[114:115], v[44:45], v[66:67]      // 000000003F94: D3B04042 1D0A5972
	v_pk_fma_f32 v[72:73], v[120:121], v[44:45], v[72:73]      // 000000003F9C: D3B04048 1D225978
	v_pk_fma_f32 v[74:75], v[122:123], v[44:45], v[74:75]      // 000000003FA4: D3B0404A 1D2A597A
	v_mul_f32_dpp v44, v24, v22 row_newbcast:2 row_mask:0xf bank_mask:0xf// 000000003FAC: 0A582CFA FF015218
	v_mov_b32_e32 v45, v44                                     // 000000003FB4: 7E5A032C
	v_pk_fma_f32 v[68:69], v[116:117], v[44:45], v[68:69]      // 000000003FB8: D3B04044 1D125974
	v_pk_fma_f32 v[70:71], v[118:119], v[44:45], v[70:71]      // 000000003FC0: D3B04046 1D1A5976
	v_pk_fma_f32 v[76:77], v[124:125], v[44:45], v[76:77]      // 000000003FC8: D3B0404C 1D32597C
	v_pk_fma_f32 v[78:79], v[126:127], v[44:45], v[78:79]      // 000000003FD0: D3B0404E 1D3A597E
	s_add_u32 s60, 0x200, s80                                  // 000000003FD8: 803C50FF 00000200
	s_cmp_lt_u32 s60, s81                                      // 000000003FE0: BF0A513C
	s_cselect_b32 s57, s57, 0                                  // 000000003FE4: 85398039
	s_cselect_b32 s3, s3, 0                                    // 000000003FE8: 85038003
	s_add_u32 s60, 0x200, s80                                  // 000000003FEC: 803C50FF 00000200
	s_cmp_lt_u32 s60, s81                                      // 000000003FF4: BF0A513C
	s_cselect_b32 s58, s58, 0                                  // 000000003FF8: 853A803A
	s_add_u32 s20, s57, s20                                    // 000000003FFC: 80141439
	s_addc_u32 s21, 0, s21                                     // 000000004000: 82151580
	s_add_u32 s28, s3, s28                                     // 000000004004: 801C1C03
	s_addc_u32 s29, 0, s29                                     // 000000004008: 821D1D80
	s_add_u32 s24, s58, s24                                    // 00000000400C: 8018183A
	s_addc_u32 s25, 0, s25                                     // 000000004010: 82191980
	s_add_u32 s92, s90, s92                                    // 000000004014: 805C5C5A
	s_addc_u32 s93, 0, s93                                     // 000000004018: 825D5D80
	s_addk_i32 s80, 0x100                                      // 00000000401C: B7500100
	s_cmp_lt_i32 s80, s81                                      // 000000004020: BF045150
	s_cbranch_scc0 label_048B                                  // 000000004024: BF840001
	s_branch label_02C2                                        // 000000004028: BF82FE37

000000000000402c <label_048B>:
	s_mov_b32 s20, 0                                           // 00000000402C: BE940080
	s_cmp_lt_u32 s89, s66                                      // 000000004030: BF0A4259
	s_cselect_b32 s60, 0, 1                                    // 000000004034: 853C8180
	s_lshl1_add_u32 s20, s20, s60                              // 000000004038: 97143C14
	s_cmp_lt_u32 s88, s66                                      // 00000000403C: BF0A4258
	s_cselect_b32 s60, 0, 1                                    // 000000004040: 853C8180
	s_lshl1_add_u32 s20, s20, s60                              // 000000004044: 97143C14
	s_cmp_lt_u32 s87, s66                                      // 000000004048: BF0A4257
	s_cselect_b32 s60, 0, 1                                    // 00000000404C: 853C8180
	s_lshl1_add_u32 s20, s20, s60                              // 000000004050: 97143C14
	s_cmp_lt_u32 s86, s66                                      // 000000004054: BF0A4256
	s_cselect_b32 s60, 0, 1                                    // 000000004058: 853C8180
	s_lshl1_add_u32 s20, s20, s60                              // 00000000405C: 97143C14
	s_cmp_lt_u32 s85, s66                                      // 000000004060: BF0A4255
	s_cselect_b32 s60, 0, 1                                    // 000000004064: 853C8180
	s_lshl1_add_u32 s20, s20, s60                              // 000000004068: 97143C14
	s_cmp_lt_u32 s84, s66                                      // 00000000406C: BF0A4254
	s_cselect_b32 s60, 0, 1                                    // 000000004070: 853C8180
	s_lshl1_add_u32 s20, s20, s60                              // 000000004074: 97143C14
	s_cmp_lt_u32 s83, s66                                      // 000000004078: BF0A4253
	s_cselect_b32 s60, 0, 1                                    // 00000000407C: 853C8180
	s_lshl1_add_u32 s20, s20, s60                              // 000000004080: 97143C14
	s_cmp_lt_u32 s82, s66                                      // 000000004084: BF0A4252
	s_cselect_b32 s60, 0, 1                                    // 000000004088: 853C8180
	s_lshl1_add_u32 s20, s20, s60                              // 00000000408C: 97143C14
	s_waitcnt vmcnt(4)                                         // 000000004090: BF8C0F74
	buffer_load_dwordx4 a[0:3], v36, s[12:15], 0 offen         // 000000004094: E05C1000 80830024
	v_mul_f32_e64 v44, -v96, s6                                // 00000000409C: D105002C 20000D60
	v_mul_f32_e64 v45, -v97, s6                                // 0000000040A4: D105002D 20000D61
	v_mul_f32_e64 v46, -v98, s6                                // 0000000040AC: D105002E 20000D62
	v_mul_f32_e64 v47, -v99, s6                                // 0000000040B4: D105002F 20000D63
	v_exp_f32_e32 v44, v44                                     // 0000000040BC: 7E58412C
	v_exp_f32_e32 v45, v45                                     // 0000000040C0: 7E5A412D
	v_exp_f32_e32 v46, v46                                     // 0000000040C4: 7E5C412E
	v_exp_f32_e32 v47, v47                                     // 0000000040C8: 7E5E412F
	buffer_load_dwordx4 a[4:7], v36, s[12:15], 0 offen offset:1024// 0000000040CC: E05C1400 80830424
	v_add_f32_e64 v44, v44, 1.0                                // 0000000040D4: D101002C 0001E52C
	v_add_f32_e64 v45, v45, 1.0                                // 0000000040DC: D101002D 0001E52D
	v_add_f32_e64 v46, v46, 1.0                                // 0000000040E4: D101002E 0001E52E
	v_add_f32_e64 v47, v47, 1.0                                // 0000000040EC: D101002F 0001E52F
	v_rcp_f32_e32 v44, v44                                     // 0000000040F4: 7E58452C
	v_rcp_f32_e32 v45, v45                                     // 0000000040F8: 7E5A452D
	v_rcp_f32_e32 v46, v46                                     // 0000000040FC: 7E5C452E
	v_rcp_f32_e32 v47, v47                                     // 000000004100: 7E5E452F
	v_mul_f32_e32 v96, v96, v44                                // 000000004104: 0AC05960
	v_mul_f32_e32 v97, v97, v45                                // 000000004108: 0AC25B61
	v_mul_f32_e32 v98, v98, v46                                // 00000000410C: 0AC45D62
	v_mul_f32_e32 v99, v99, v47                                // 000000004110: 0AC65F63
	v_mul_f32_e32 v96, v96, v64                                // 000000004114: 0AC08160
	v_mul_f32_e32 v97, v97, v65                                // 000000004118: 0AC28361
	v_mul_f32_e32 v98, v98, v66                                // 00000000411C: 0AC48562
	v_mul_f32_e32 v99, v99, v67                                // 000000004120: 0AC68763
	buffer_load_dwordx4 a[8:11], v37, s[12:15], 0 offen        // 000000004124: E05C1000 80830825
	v_mul_f32_e64 v44, -v100, s6                               // 00000000412C: D105002C 20000D64
	v_mul_f32_e64 v45, -v101, s6                               // 000000004134: D105002D 20000D65
	v_mul_f32_e64 v46, -v102, s6                               // 00000000413C: D105002E 20000D66
	v_mul_f32_e64 v47, -v103, s6                               // 000000004144: D105002F 20000D67
	v_exp_f32_e32 v44, v44                                     // 00000000414C: 7E58412C
	v_exp_f32_e32 v45, v45                                     // 000000004150: 7E5A412D
	v_exp_f32_e32 v46, v46                                     // 000000004154: 7E5C412E
	v_exp_f32_e32 v47, v47                                     // 000000004158: 7E5E412F
	buffer_load_dwordx4 a[12:15], v37, s[12:15], 0 offen offset:1024// 00000000415C: E05C1400 80830C25
	v_add_f32_e64 v44, v44, 1.0                                // 000000004164: D101002C 0001E52C
	v_add_f32_e64 v45, v45, 1.0                                // 00000000416C: D101002D 0001E52D
	v_add_f32_e64 v46, v46, 1.0                                // 000000004174: D101002E 0001E52E
	v_add_f32_e64 v47, v47, 1.0                                // 00000000417C: D101002F 0001E52F
	v_rcp_f32_e32 v44, v44                                     // 000000004184: 7E58452C
	v_rcp_f32_e32 v45, v45                                     // 000000004188: 7E5A452D
	v_rcp_f32_e32 v46, v46                                     // 00000000418C: 7E5C452E
	v_rcp_f32_e32 v47, v47                                     // 000000004190: 7E5E452F
	v_mul_f32_e32 v100, v100, v44                              // 000000004194: 0AC85964
	v_mul_f32_e32 v101, v101, v45                              // 000000004198: 0ACA5B65
	v_mul_f32_e32 v102, v102, v46                              // 00000000419C: 0ACC5D66
	v_mul_f32_e32 v103, v103, v47                              // 0000000041A0: 0ACE5F67
	v_mul_f32_e32 v100, v100, v68                              // 0000000041A4: 0AC88964
	v_mul_f32_e32 v101, v101, v69                              // 0000000041A8: 0ACA8B65
	v_mul_f32_e32 v102, v102, v70                              // 0000000041AC: 0ACC8D66
	v_mul_f32_e32 v103, v103, v71                              // 0000000041B0: 0ACE8F67
	s_waitcnt vmcnt(4)                                         // 0000000041B4: BF8C0F74
	buffer_load_dwordx4 a[16:19], v38, s[12:15], 0 offen       // 0000000041B8: E05C1000 80831026
	v_mul_f32_e64 v44, -v104, s6                               // 0000000041C0: D105002C 20000D68
	v_mul_f32_e64 v45, -v105, s6                               // 0000000041C8: D105002D 20000D69
	v_mul_f32_e64 v46, -v106, s6                               // 0000000041D0: D105002E 20000D6A
	v_mul_f32_e64 v47, -v107, s6                               // 0000000041D8: D105002F 20000D6B
	v_exp_f32_e32 v44, v44                                     // 0000000041E0: 7E58412C
	v_exp_f32_e32 v45, v45                                     // 0000000041E4: 7E5A412D
	v_exp_f32_e32 v46, v46                                     // 0000000041E8: 7E5C412E
	v_exp_f32_e32 v47, v47                                     // 0000000041EC: 7E5E412F
	buffer_load_dwordx4 a[20:23], v38, s[12:15], 0 offen offset:1024// 0000000041F0: E05C1400 80831426
	v_add_f32_e64 v44, v44, 1.0                                // 0000000041F8: D101002C 0001E52C
	v_add_f32_e64 v45, v45, 1.0                                // 000000004200: D101002D 0001E52D
	v_add_f32_e64 v46, v46, 1.0                                // 000000004208: D101002E 0001E52E
	v_add_f32_e64 v47, v47, 1.0                                // 000000004210: D101002F 0001E52F
	v_rcp_f32_e32 v44, v44                                     // 000000004218: 7E58452C
	v_rcp_f32_e32 v45, v45                                     // 00000000421C: 7E5A452D
	v_rcp_f32_e32 v46, v46                                     // 000000004220: 7E5C452E
	v_rcp_f32_e32 v47, v47                                     // 000000004224: 7E5E452F
	v_mul_f32_e32 v104, v104, v44                              // 000000004228: 0AD05968
	v_mul_f32_e32 v105, v105, v45                              // 00000000422C: 0AD25B69
	v_mul_f32_e32 v106, v106, v46                              // 000000004230: 0AD45D6A
	v_mul_f32_e32 v107, v107, v47                              // 000000004234: 0AD65F6B
	v_mul_f32_e32 v104, v104, v72                              // 000000004238: 0AD09168
	v_mul_f32_e32 v105, v105, v73                              // 00000000423C: 0AD29369
	v_mul_f32_e32 v106, v106, v74                              // 000000004240: 0AD4956A
	v_mul_f32_e32 v107, v107, v75                              // 000000004244: 0AD6976B
	buffer_load_dwordx4 a[24:27], v39, s[12:15], 0 offen       // 000000004248: E05C1000 80831827
	v_mul_f32_e64 v44, -v108, s6                               // 000000004250: D105002C 20000D6C
	v_mul_f32_e64 v45, -v109, s6                               // 000000004258: D105002D 20000D6D
	v_mul_f32_e64 v46, -v110, s6                               // 000000004260: D105002E 20000D6E
	v_mul_f32_e64 v47, -v111, s6                               // 000000004268: D105002F 20000D6F
	v_exp_f32_e32 v44, v44                                     // 000000004270: 7E58412C
	v_exp_f32_e32 v45, v45                                     // 000000004274: 7E5A412D
	v_exp_f32_e32 v46, v46                                     // 000000004278: 7E5C412E
	v_exp_f32_e32 v47, v47                                     // 00000000427C: 7E5E412F
	buffer_load_dwordx4 a[28:31], v39, s[12:15], 0 offen offset:1024// 000000004280: E05C1400 80831C27
	v_add_f32_e64 v44, v44, 1.0                                // 000000004288: D101002C 0001E52C
	v_add_f32_e64 v45, v45, 1.0                                // 000000004290: D101002D 0001E52D
	v_add_f32_e64 v46, v46, 1.0                                // 000000004298: D101002E 0001E52E
	v_add_f32_e64 v47, v47, 1.0                                // 0000000042A0: D101002F 0001E52F
	v_rcp_f32_e32 v44, v44                                     // 0000000042A8: 7E58452C
	v_rcp_f32_e32 v45, v45                                     // 0000000042AC: 7E5A452D
	v_rcp_f32_e32 v46, v46                                     // 0000000042B0: 7E5C452E
	v_rcp_f32_e32 v47, v47                                     // 0000000042B4: 7E5E452F
	v_mul_f32_e32 v108, v108, v44                              // 0000000042B8: 0AD8596C
	v_mul_f32_e32 v109, v109, v45                              // 0000000042BC: 0ADA5B6D
	v_mul_f32_e32 v110, v110, v46                              // 0000000042C0: 0ADC5D6E
	v_mul_f32_e32 v111, v111, v47                              // 0000000042C4: 0ADE5F6F
	v_mul_f32_e32 v108, v108, v76                              // 0000000042C8: 0AD8996C
	v_mul_f32_e32 v109, v109, v77                              // 0000000042CC: 0ADA9B6D
	v_mul_f32_e32 v110, v110, v78                              // 0000000042D0: 0ADC9D6E
	v_mul_f32_e32 v111, v111, v79                              // 0000000042D4: 0ADE9F6F
	v_lshlrev_b32_e32 v44, 2, v0                               // 0000000042D8: 24580082
	s_mul_i32 s60, s82, s71                                    // 0000000042DC: 923C4752
	v_add_u32_e64 v80, v44, s60                                // 0000000042E0: D1340050 0000792C
	v_mov_b32_e32 v81, 0                                       // 0000000042E8: 7EA20280
	s_mul_i32 s60, s83, s71                                    // 0000000042EC: 923C4753
	v_add_u32_e64 v82, v44, s60                                // 0000000042F0: D1340052 0000792C
	v_mov_b32_e32 v83, 0                                       // 0000000042F8: 7EA60280
	s_mul_i32 s60, s84, s71                                    // 0000000042FC: 923C4754
	v_add_u32_e64 v84, v44, s60                                // 000000004300: D1340054 0000792C
	v_mov_b32_e32 v85, 0                                       // 000000004308: 7EAA0280
	s_mul_i32 s60, s85, s71                                    // 00000000430C: 923C4755
	v_add_u32_e64 v86, v44, s60                                // 000000004310: D1340056 0000792C
	v_mov_b32_e32 v87, 0                                       // 000000004318: 7EAE0280
	s_mul_i32 s60, s86, s71                                    // 00000000431C: 923C4756
	v_add_u32_e64 v88, v44, s60                                // 000000004320: D1340058 0000792C
	v_mov_b32_e32 v89, 0                                       // 000000004328: 7EB20280
	s_mul_i32 s60, s87, s71                                    // 00000000432C: 923C4757
	v_add_u32_e64 v90, v44, s60                                // 000000004330: D134005A 0000792C
	v_mov_b32_e32 v91, 0                                       // 000000004338: 7EB60280
	s_mul_i32 s60, s88, s71                                    // 00000000433C: 923C4758
	v_add_u32_e64 v92, v44, s60                                // 000000004340: D134005C 0000792C
	v_mov_b32_e32 v93, 0                                       // 000000004348: 7EBA0280
	s_mul_i32 s60, s89, s71                                    // 00000000434C: 923C4759
	v_add_u32_e64 v94, v44, s60                                // 000000004350: D134005E 0000792C
	v_mov_b32_e32 v95, 0                                       // 000000004358: 7EBE0280
	buffer_load_dword v23, v6, s[16:19], 0 offen               // 00000000435C: E0501000 80041706
	v_mov_b32_e32 v28, 0x358637bd                              // 000000004364: 7E3802FF 358637BD
	v_mov_b32_e32 v29, 0x358637bd                              // 00000000436C: 7E3A02FF 358637BD
	v_max3_f32 v28, |v96|, |v97|, v28                          // 000000004374: D1D3031C 0472C360
	v_max3_f32 v28, |v98|, |v99|, v28                          // 00000000437C: D1D3031C 0472C762
	v_max3_f32 v29, |v100|, |v101|, v29                        // 000000004384: D1D3031D 0476CB64
	v_max3_f32 v29, |v102|, |v103|, v29                        // 00000000438C: D1D3031D 0476CF66
	v_max3_f32 v28, |v104|, |v105|, v28                        // 000000004394: D1D3031C 0472D368
	v_max3_f32 v28, |v106|, |v107|, v28                        // 00000000439C: D1D3031C 0472D76A
	v_max3_f32 v29, |v108|, |v109|, v29                        // 0000000043A4: D1D3031D 0476DB6C
	v_max3_f32 v29, |v110|, |v111|, v29                        // 0000000043AC: D1D3031D 0476DF6E
	v_mov_b32_e32 v44, v28                                     // 0000000043B4: 7E58031C
	s_nop 1                                                    // 0000000043B8: BF800001
	v_permlane32_swap_b32_e32 v44, v28                         // 0000000043BC: 7E58B51C
	v_max_f32_e32 v28, v44, v28                                // 0000000043C0: 1638392C
	v_mov_b32_e32 v44, v28                                     // 0000000043C4: 7E58031C
	s_nop 1                                                    // 0000000043C8: BF800001
	v_permlane16_swap_b32_e32 v44, v28                         // 0000000043CC: 7E58B31C
	v_max_f32_e32 v28, v44, v28                                // 0000000043D0: 1638392C
	v_mov_b32_e32 v44, v29                                     // 0000000043D4: 7E58031D
	s_nop 1                                                    // 0000000043D8: BF800001
	v_permlane32_swap_b32_e32 v44, v29                         // 0000000043DC: 7E58B51D
	v_max_f32_e32 v29, v44, v29                                // 0000000043E0: 163A3B2C
	v_mov_b32_e32 v44, v29                                     // 0000000043E4: 7E58031D
	s_nop 1                                                    // 0000000043E8: BF800001
	v_permlane16_swap_b32_e32 v44, v29                         // 0000000043EC: 7E58B31D
	v_max_f32_e32 v29, v44, v29                                // 0000000043F0: 163A3B2C
	v_lshlrev_b32_e32 v44, 2, v0                               // 0000000043F4: 24580082
	s_mul_i32 s60, 64, s7                                      // 0000000043F8: 923C07C0
	v_add_u32_e32 v44, s60, v44                                // 0000000043FC: 6858583C
	s_mov_b32 s60, 0xffff                                      // 000000004400: BEBC00FF 0000FFFF
	s_mov_b32 s61, 0                                           // 000000004408: BEBD0080
	s_mov_b64 exec, s[60:61]                                   // 00000000440C: BEFE013C
	ds_write_b32 v44, v28 offset:18944                         // 000000004410: D81A4A00 00001C2C
	ds_write_b32 v44, v29 offset:19200                         // 000000004418: D81A4B00 00001D2C
	s_mov_b32 s60, -1                                          // 000000004420: BEBC00C1
	s_mov_b32 s61, -1                                          // 000000004424: BEBD00C1
	s_mov_b64 exec, s[60:61]                                   // 000000004428: BEFE013C
	s_waitcnt lgkmcnt(0)                                       // 00000000442C: BF8CC07F
	s_barrier                                                  // 000000004430: BF8A0000
	v_lshlrev_b32_e32 v44, 2, v0                               // 000000004434: 24580082
	ds_read_b32 v112, v44 offset:18944                         // 000000004438: D86C4A00 7000002C
	ds_read_b32 v113, v44 offset:19200                         // 000000004440: D86C4B00 7100002C
	s_waitcnt lgkmcnt(0)                                       // 000000004448: BF8CC07F
	v_mov_b32_e32 v44, v112                                    // 00000000444C: 7E580370
	s_nop 1                                                    // 000000004450: BF800001
	v_permlane32_swap_b32_e32 v44, v112                        // 000000004454: 7E58B570
	v_max_f32_e32 v112, v44, v112                              // 000000004458: 16E0E12C
	v_mov_b32_e32 v44, v112                                    // 00000000445C: 7E580370
	s_nop 1                                                    // 000000004460: BF800001
	v_permlane16_swap_b32_e32 v44, v112                        // 000000004464: 7E58B370
	v_max_f32_e32 v112, v44, v112                              // 000000004468: 16E0E12C
	v_mov_b32_e32 v44, v113                                    // 00000000446C: 7E580371
	s_nop 1                                                    // 000000004470: BF800001
	v_permlane32_swap_b32_e32 v44, v113                        // 000000004474: 7E58B571
	v_max_f32_e32 v113, v44, v113                              // 000000004478: 16E2E32C
	v_mov_b32_e32 v44, v113                                    // 00000000447C: 7E580371
	s_nop 1                                                    // 000000004480: BF800001
	v_permlane16_swap_b32_e32 v44, v113                        // 000000004484: 7E58B371
	v_max_f32_e32 v113, v44, v113                              // 000000004488: 16E2E32C
	v_max_f32_e32 v28, v112, v28                               // 00000000448C: 16383970
	v_max_f32_e32 v29, v113, v29                               // 000000004490: 163A3B71
	v_rcp_f32_e32 v28, v28                                     // 000000004494: 7E38451C
	v_rcp_f32_e32 v29, v29                                     // 000000004498: 7E3A451D
	v_mov_b32_e32 v44, 0x43e00000                              // 00000000449C: 7E5802FF 43E00000
	v_mul_f32_e32 v28, v44, v28                                // 0000000044A4: 0A38392C
	v_mul_f32_e32 v29, v44, v29                                // 0000000044A8: 0A3A3B2C
	v_mul_f32_e32 v96, v28, v96                                // 0000000044AC: 0AC0C11C
	v_mul_f32_e32 v97, v28, v97                                // 0000000044B0: 0AC2C31C
	v_mul_f32_e32 v98, v28, v98                                // 0000000044B4: 0AC4C51C
	v_mul_f32_e32 v99, v28, v99                                // 0000000044B8: 0AC6C71C
	v_cvt_pk_fp8_f32 v96, v96, v97                             // 0000000044BC: D2A20060 0002C360
	v_cvt_pk_fp8_f32 v96, v98, v99 op_sel:[0,0,1]              // 0000000044C4: D2A24060 0002C762
	v_mul_f32_e32 v100, v29, v100                              // 0000000044CC: 0AC8C91D
	v_mul_f32_e32 v101, v29, v101                              // 0000000044D0: 0ACACB1D
	v_mul_f32_e32 v102, v29, v102                              // 0000000044D4: 0ACCCD1D
	v_mul_f32_e32 v103, v29, v103                              // 0000000044D8: 0ACECF1D
	v_cvt_pk_fp8_f32 v97, v100, v101                           // 0000000044DC: D2A20061 0002CB64
	v_cvt_pk_fp8_f32 v97, v102, v103 op_sel:[0,0,1]            // 0000000044E4: D2A24061 0002CF66
	v_mul_f32_e32 v104, v28, v104                              // 0000000044EC: 0AD0D11C
	v_mul_f32_e32 v105, v28, v105                              // 0000000044F0: 0AD2D31C
	v_mul_f32_e32 v106, v28, v106                              // 0000000044F4: 0AD4D51C
	v_mul_f32_e32 v107, v28, v107                              // 0000000044F8: 0AD6D71C
	v_cvt_pk_fp8_f32 v98, v104, v105                           // 0000000044FC: D2A20062 0002D368
	v_cvt_pk_fp8_f32 v98, v106, v107 op_sel:[0,0,1]            // 000000004504: D2A24062 0002D76A
	v_mul_f32_e32 v108, v29, v108                              // 00000000450C: 0AD8D91D
	v_mul_f32_e32 v109, v29, v109                              // 000000004510: 0ADADB1D
	v_mul_f32_e32 v110, v29, v110                              // 000000004514: 0ADCDD1D
	v_mul_f32_e32 v111, v29, v111                              // 000000004518: 0ADEDF1D
	v_cvt_pk_fp8_f32 v99, v108, v109                           // 00000000451C: D2A20063 0002DB6C
	v_cvt_pk_fp8_f32 v99, v110, v111 op_sel:[0,0,1]            // 000000004524: D2A24063 0002DF6E
	v_rcp_f32_e32 v30, v28                                     // 00000000452C: 7E3C451C
	v_rcp_f32_e32 v31, v29                                     // 000000004530: 7E3E451D
	v_lshrrev_b32_e32 v44, 5, v0                               // 000000004534: 20580085
	v_lshlrev_b32_e32 v45, 6, v44                              // 000000004538: 245A5886
	v_and_b32_e32 v44, 31, v0                                  // 00000000453C: 2658009F
	v_lshrrev_b32_e32 v46, 4, v44                              // 000000004540: 205C5884
	v_add_u32_e32 v45, v46, v45                                // 000000004544: 685A5B2E
	v_and_b32_e32 v44, 15, v0                                  // 000000004548: 2658008F
	v_lshlrev_b32_e32 v44, 1, v44                              // 00000000454C: 24585881
	v_add_u32_e32 v45, v44, v45                                // 000000004550: 685A5B2C
	v_lshlrev_b32_e32 v44, 2, v45                              // 000000004554: 24585A82
	s_mov_b32 s60, 0                                           // 000000004558: BEBC0080
	s_lshr_b32 s61, s7, 1                                      // 00000000455C: 8F3D8107
	s_mul_i32 s61, s61, 0x200                                  // 000000004560: 923DFF3D 00000200
	s_add_u32 s60, s61, s60                                    // 000000004568: 803C3C3D
	s_and_b32 s61, s7, 1                                       // 00000000456C: 863D8107
	s_mul_i32 s61, s61, 0x80                                   // 000000004570: 923DFF3D 00000080
	s_add_u32 s60, s61, s60                                    // 000000004578: 803C3C3D
	v_add_u32_e64 v44, v44, s60                                // 00000000457C: D134002C 0000792C
	ds_write_b32 v44, v96 offset:20992                         // 000000004584: D81A5200 0000602C
	ds_write_b32 v44, v97 offset:23040                         // 00000000458C: D81A5A00 0000612C
	ds_write_b32 v44, v98 offset:22016                         // 000000004594: D81A5600 0000622C
	ds_write_b32 v44, v99 offset:24064                         // 00000000459C: D81A5E00 0000632C
	s_waitcnt lgkmcnt(0)                                       // 0000000045A4: BF8CC07F
	s_barrier                                                  // 0000000045A8: BF8A0000
	v_and_b32_e32 v44, 31, v0                                  // 0000000045AC: 2658009F
	v_lshrrev_b32_e32 v44, 4, v44                              // 0000000045B0: 20585884
	v_lshlrev_b32_e32 v45, 5, v44                              // 0000000045B4: 245A5885
	v_lshrrev_b32_e32 v44, 5, v0                               // 0000000045B8: 20580085
	v_lshlrev_b32_e32 v44, 7, v44                              // 0000000045BC: 24585887
	v_add_u32_e32 v45, v44, v45                                // 0000000045C0: 685A5B2C
	v_and_b32_e32 v44, 15, v0                                  // 0000000045C4: 2658008F
	v_lshlrev_b32_e32 v44, 1, v44                              // 0000000045C8: 24585881
	v_add_u32_e32 v45, v44, v45                                // 0000000045CC: 685A5B2C
	v_lshlrev_b32_e32 v44, 2, v45                              // 0000000045D0: 24585A82
	ds_read_b64 v[96:97], v44 offset:20992                     // 0000000045D4: D8EC5200 6000002C
	ds_read_b64 v[98:99], v44 offset:21248                     // 0000000045DC: D8EC5300 6200002C
	ds_read_b64 v[100:101], v44 offset:22016                   // 0000000045E4: D8EC5600 6400002C
	ds_read_b64 v[102:103], v44 offset:22272                   // 0000000045EC: D8EC5700 6600002C
	ds_read_b64 v[104:105], v44 offset:23040                   // 0000000045F4: D8EC5A00 6800002C
	ds_read_b64 v[106:107], v44 offset:23296                   // 0000000045FC: D8EC5B00 6A00002C
	ds_read_b64 v[108:109], v44 offset:24064                   // 000000004604: D8EC5E00 6C00002C
	ds_read_b64 v[110:111], v44 offset:24320                   // 00000000460C: D8EC5F00 6E00002C
	s_add_u32 s12, s56, s12                                    // 000000004614: 800C0C38
	s_addc_u32 s13, 0, s13                                     // 000000004618: 820D0D80
	s_add_u32 s16, s79, s16                                    // 00000000461C: 8010104F
	s_addc_u32 s17, 0, s17                                     // 000000004620: 82111180
	s_waitcnt lgkmcnt(0)                                       // 000000004624: BF8CC07F
	s_barrier                                                  // 000000004628: BF8A0000
	v_mov_b32_e32 v128, 0                                      // 00000000462C: 7F000280
	v_mov_b32_e32 v160, 0                                      // 000000004630: 7F400280
	v_mov_b32_e32 v129, 0                                      // 000000004634: 7F020280
	v_mov_b32_e32 v161, 0                                      // 000000004638: 7F420280
	v_mov_b32_e32 v130, 0                                      // 00000000463C: 7F040280
	v_mov_b32_e32 v162, 0                                      // 000000004640: 7F440280
	v_mov_b32_e32 v131, 0                                      // 000000004644: 7F060280
	v_mov_b32_e32 v163, 0                                      // 000000004648: 7F460280
	v_mov_b32_e32 v132, 0                                      // 00000000464C: 7F080280
	v_mov_b32_e32 v164, 0                                      // 000000004650: 7F480280
	v_mov_b32_e32 v133, 0                                      // 000000004654: 7F0A0280
	v_mov_b32_e32 v165, 0                                      // 000000004658: 7F4A0280
	v_mov_b32_e32 v134, 0                                      // 00000000465C: 7F0C0280
	v_mov_b32_e32 v166, 0                                      // 000000004660: 7F4C0280
	v_mov_b32_e32 v135, 0                                      // 000000004664: 7F0E0280
	v_mov_b32_e32 v167, 0                                      // 000000004668: 7F4E0280
	v_mov_b32_e32 v136, 0                                      // 00000000466C: 7F100280
	v_mov_b32_e32 v168, 0                                      // 000000004670: 7F500280
	v_mov_b32_e32 v137, 0                                      // 000000004674: 7F120280
	v_mov_b32_e32 v169, 0                                      // 000000004678: 7F520280
	v_mov_b32_e32 v138, 0                                      // 00000000467C: 7F140280
	v_mov_b32_e32 v170, 0                                      // 000000004680: 7F540280
	v_mov_b32_e32 v139, 0                                      // 000000004684: 7F160280
	v_mov_b32_e32 v171, 0                                      // 000000004688: 7F560280
	v_mov_b32_e32 v140, 0                                      // 00000000468C: 7F180280
	v_mov_b32_e32 v172, 0                                      // 000000004690: 7F580280
	v_mov_b32_e32 v141, 0                                      // 000000004694: 7F1A0280
	v_mov_b32_e32 v173, 0                                      // 000000004698: 7F5A0280
	v_mov_b32_e32 v142, 0                                      // 00000000469C: 7F1C0280
	v_mov_b32_e32 v174, 0                                      // 0000000046A0: 7F5C0280
	v_mov_b32_e32 v143, 0                                      // 0000000046A4: 7F1E0280
	v_mov_b32_e32 v175, 0                                      // 0000000046A8: 7F5E0280
	ds_write_b64 v4, v[128:129] offset:20992                   // 0000000046AC: D89A5200 00008004
	ds_write_b64 v4, v[130:131] offset:29696                   // 0000000046B4: D89A7400 00008204
	ds_write_b64 v4, v[132:133] offset:23168                   // 0000000046BC: D89A5A80 00008404
	ds_write_b64 v4, v[134:135] offset:31872                   // 0000000046C4: D89A7C80 00008604
	ds_write_b64 v4, v[136:137] offset:25344                   // 0000000046CC: D89A6300 00008804
	ds_write_b64 v4, v[138:139] offset:34048                   // 0000000046D4: D89A8500 00008A04
	ds_write_b64 v4, v[140:141] offset:27520                   // 0000000046DC: D89A6B80 00008C04
	ds_write_b64 v4, v[142:143] offset:36224                   // 0000000046E4: D89A8D80 00008E04
	s_mov_b32 s80, 0                                           // 0000000046EC: BED00080
	s_waitcnt vmcnt(0) expcnt(0) lgkmcnt(0)                    // 0000000046F0: BF8C0000

00000000000046f4 <label_063D>:
	s_waitcnt vmcnt(4) lgkmcnt(0)                              // 0000000046F4: BF8C0074
	s_barrier                                                  // 0000000046F8: BF8A0000
	v_mfma_f32_16x16x128_f8f6f4 v[128:131], a[0:7], v[96:103], 0// 0000000046FC: D3AD0080 0A02C100
	ds_read_b32 v64, v5 offset:20992                           // 000000004704: D86C5200 40000005
	ds_read_b32 v65, v5 offset:25344                           // 00000000470C: D86C6300 41000005
	ds_read_b32 v66, v5 offset:21000                           // 000000004714: D86C5208 42000005
	ds_read_b32 v67, v5 offset:25352                           // 00000000471C: D86C6308 43000005
	v_mfma_f32_16x16x128_f8f6f4 v[132:135], a[0:7], v[104:111], 0// 000000004724: D3AD0084 0A02D100
	buffer_load_dwordx4 a[32:35], v36, s[12:15], 0 offen       // 00000000472C: E05C1000 80832024
	buffer_load_dwordx4 a[36:39], v36, s[12:15], 0 offen offset:1024// 000000004734: E05C1400 80832424
	v_mfma_f32_16x16x128_f8f6f4 v[136:139], a[8:15], v[96:103], 0// 00000000473C: D3AD0088 0A02C108
	ds_read_b32 v68, v5 offset:21024                           // 000000004744: D86C5220 44000005
	ds_read_b32 v69, v5 offset:25376                           // 00000000474C: D86C6320 45000005
	ds_read_b32 v70, v5 offset:21032                           // 000000004754: D86C5228 46000005
	ds_read_b32 v71, v5 offset:25384                           // 00000000475C: D86C6328 47000005
	v_mfma_f32_16x16x128_f8f6f4 v[140:143], a[8:15], v[104:111], 0// 000000004764: D3AD008C 0A02D108
	buffer_load_dwordx4 a[40:43], v37, s[12:15], 0 offen       // 00000000476C: E05C1000 80832825
	buffer_load_dwordx4 a[44:47], v37, s[12:15], 0 offen offset:1024// 000000004774: E05C1400 80832C25
	buffer_load_dword v24, v6, s[16:19], 0 offen               // 00000000477C: E0501000 80041806
	s_waitcnt vmcnt(5)                                         // 000000004784: BF8C0F75
	v_mfma_f32_16x16x128_f8f6f4 v[144:147], a[16:23], v[96:103], 0// 000000004788: D3AD0090 0A02C110
	ds_read_b32 v72, v5 offset:29696                           // 000000004790: D86C7400 48000005
	ds_read_b32 v73, v5 offset:34048                           // 000000004798: D86C8500 49000005
	ds_read_b32 v74, v5 offset:29704                           // 0000000047A0: D86C7408 4A000005
	ds_read_b32 v75, v5 offset:34056                           // 0000000047A8: D86C8508 4B000005
	ds_write_b64 v4, v[160:161] offset:38400                   // 0000000047B0: D89A9600 0000A004
	ds_write_b64 v4, v[162:163] offset:47104                   // 0000000047B8: D89AB800 0000A204
	ds_write_b64 v4, v[164:165] offset:40576                   // 0000000047C0: D89A9E80 0000A404
	ds_write_b64 v4, v[166:167] offset:49280                   // 0000000047C8: D89AC080 0000A604
	v_mfma_f32_16x16x128_f8f6f4 v[148:151], a[16:23], v[104:111], 0// 0000000047D0: D3AD0094 0A02D110
	buffer_load_dwordx4 a[48:51], v38, s[12:15], 0 offen       // 0000000047D8: E05C1000 80833026
	buffer_load_dwordx4 a[52:55], v38, s[12:15], 0 offen offset:1024// 0000000047E0: E05C1400 80833426
	v_mfma_f32_16x16x128_f8f6f4 v[152:155], a[24:31], v[96:103], 0// 0000000047E8: D3AD0098 0A02C118
	ds_read_b32 v76, v5 offset:29728                           // 0000000047F0: D86C7420 4C000005
	ds_read_b32 v77, v5 offset:34080                           // 0000000047F8: D86C8520 4D000005
	ds_read_b32 v78, v5 offset:29736                           // 000000004800: D86C7428 4E000005
	ds_read_b32 v79, v5 offset:34088                           // 000000004808: D86C8528 4F000005
	ds_write_b64 v4, v[168:169] offset:42752                   // 000000004810: D89AA700 0000A804
	ds_write_b64 v4, v[170:171] offset:51456                   // 000000004818: D89AC900 0000AA04
	ds_write_b64 v4, v[172:173] offset:44928                   // 000000004820: D89AAF80 0000AC04
	ds_write_b64 v4, v[174:175] offset:53632                   // 000000004828: D89AD180 0000AE04
	v_mfma_f32_16x16x128_f8f6f4 v[156:159], a[24:31], v[104:111], 0// 000000004830: D3AD009C 0A02D118
	buffer_load_dwordx4 a[56:59], v39, s[12:15], 0 offen       // 000000004838: E05C1000 80833827
	buffer_load_dwordx4 a[60:63], v39, s[12:15], 0 offen offset:1024// 000000004840: E05C1400 80833C27
	v_mul_f32_dpp v44, v23, v30 row_newbcast:0 row_mask:0xf bank_mask:0xf// 000000004848: 0A583CFA FF015017
	v_mov_b32_e32 v45, v44                                     // 000000004850: 7E5A032C
	v_pk_mul_f32 v[128:129], v[44:45], v[128:129]              // 000000004854: D3B14080 1803012C
	v_pk_mul_f32 v[130:131], v[44:45], v[130:131]              // 00000000485C: D3B14082 1803052C
	v_pk_mul_f32 v[136:137], v[44:45], v[136:137]              // 000000004864: D3B14088 1803112C
	v_pk_mul_f32 v[138:139], v[44:45], v[138:139]              // 00000000486C: D3B1408A 1803152C
	v_mul_f32_dpp v44, v23, v30 row_newbcast:1 row_mask:0xf bank_mask:0xf// 000000004874: 0A583CFA FF015117
	v_mov_b32_e32 v45, v44                                     // 00000000487C: 7E5A032C
	v_pk_mul_f32 v[144:145], v[44:45], v[144:145]              // 000000004880: D3B14090 1803212C
	v_pk_mul_f32 v[146:147], v[44:45], v[146:147]              // 000000004888: D3B14092 1803252C
	v_pk_mul_f32 v[152:153], v[44:45], v[152:153]              // 000000004890: D3B14098 1803312C
	v_pk_mul_f32 v[154:155], v[44:45], v[154:155]              // 000000004898: D3B1409A 1803352C
	v_mul_f32_dpp v44, v23, v31 row_newbcast:0 row_mask:0xf bank_mask:0xf// 0000000048A0: 0A583EFA FF015017
	v_mov_b32_e32 v45, v44                                     // 0000000048A8: 7E5A032C
	v_pk_mul_f32 v[132:133], v[44:45], v[132:133]              // 0000000048AC: D3B14084 1803092C
	v_pk_mul_f32 v[134:135], v[44:45], v[134:135]              // 0000000048B4: D3B14086 18030D2C
	v_pk_mul_f32 v[140:141], v[44:45], v[140:141]              // 0000000048BC: D3B1408C 1803192C
	v_pk_mul_f32 v[142:143], v[44:45], v[142:143]              // 0000000048C4: D3B1408E 18031D2C
	v_mul_f32_dpp v44, v23, v31 row_newbcast:1 row_mask:0xf bank_mask:0xf// 0000000048CC: 0A583EFA FF015117
	v_mov_b32_e32 v45, v44                                     // 0000000048D4: 7E5A032C
	v_pk_mul_f32 v[148:149], v[44:45], v[148:149]              // 0000000048D8: D3B14094 1803292C
	v_pk_mul_f32 v[150:151], v[44:45], v[150:151]              // 0000000048E0: D3B14096 18032D2C
	v_pk_mul_f32 v[156:157], v[44:45], v[156:157]              // 0000000048E8: D3B1409C 1803392C
	v_pk_mul_f32 v[158:159], v[44:45], v[158:159]              // 0000000048F0: D3B1409E 18033D2C
	s_add_u32 s60, 0x200, s80                                  // 0000000048F8: 803C50FF 00000200
	s_cmp_lt_u32 s60, s81                                      // 000000004900: BF0A513C
	s_cselect_b32 s56, s56, 0                                  // 000000004904: 85388038
	s_cselect_b32 s78, s78, 0                                  // 000000004908: 854E804E
	s_cselect_b32 s79, s79, 0                                  // 00000000490C: 854F804F
	s_add_u32 s12, s56, s12                                    // 000000004910: 800C0C38
	s_addc_u32 s13, 0, s13                                     // 000000004914: 820D0D80
	s_add_u32 s16, s79, s16                                    // 000000004918: 8010104F
	s_addc_u32 s17, 0, s17                                     // 00000000491C: 82111180
	v_mov_b32_e32 v44, v25                                     // 000000004920: 7E580319
	v_mov_b32_e32 v45, v25                                     // 000000004924: 7E5A0319
	v_pk_mul_f32 v[128:129], v[44:45], v[128:129]              // 000000004928: D3B14080 1803012C
	v_pk_mul_f32 v[130:131], v[44:45], v[130:131]              // 000000004930: D3B14082 1803052C
	v_pk_mul_f32 v[136:137], v[44:45], v[136:137]              // 000000004938: D3B14088 1803112C
	v_pk_mul_f32 v[138:139], v[44:45], v[138:139]              // 000000004940: D3B1408A 1803152C
	v_pk_mul_f32 v[144:145], v[44:45], v[144:145]              // 000000004948: D3B14090 1803212C
	v_pk_mul_f32 v[146:147], v[44:45], v[146:147]              // 000000004950: D3B14092 1803252C
	v_pk_mul_f32 v[152:153], v[44:45], v[152:153]              // 000000004958: D3B14098 1803312C
	v_pk_mul_f32 v[154:155], v[44:45], v[154:155]              // 000000004960: D3B1409A 1803352C
	v_mov_b32_e32 v44, v26                                     // 000000004968: 7E58031A
	v_mov_b32_e32 v45, v26                                     // 00000000496C: 7E5A031A
	v_pk_mul_f32 v[132:133], v[44:45], v[132:133]              // 000000004970: D3B14084 1803092C
	v_pk_mul_f32 v[134:135], v[44:45], v[134:135]              // 000000004978: D3B14086 18030D2C
	v_pk_mul_f32 v[140:141], v[44:45], v[140:141]              // 000000004980: D3B1408C 1803192C
	v_pk_mul_f32 v[142:143], v[44:45], v[142:143]              // 000000004988: D3B1408E 18031D2C
	v_pk_mul_f32 v[148:149], v[44:45], v[148:149]              // 000000004990: D3B14094 1803292C
	v_pk_mul_f32 v[150:151], v[44:45], v[150:151]              // 000000004998: D3B14096 18032D2C
	v_pk_mul_f32 v[156:157], v[44:45], v[156:157]              // 0000000049A0: D3B1409C 1803392C
	v_pk_mul_f32 v[158:159], v[44:45], v[158:159]              // 0000000049A8: D3B1409E 18033D2C
	v_cvt_pk_bf16_f32 v128, v128, v129                         // 0000000049B0: D2680080 00030380
	v_cvt_pk_bf16_f32 v129, v130, v131                         // 0000000049B8: D2680081 00030782
	v_cvt_pk_bf16_f32 v130, v132, v133                         // 0000000049C0: D2680082 00030B84
	v_cvt_pk_bf16_f32 v131, v134, v135                         // 0000000049C8: D2680083 00030F86
	v_cvt_pk_bf16_f32 v132, v136, v137                         // 0000000049D0: D2680084 00031388
	v_cvt_pk_bf16_f32 v133, v138, v139                         // 0000000049D8: D2680085 0003178A
	v_cvt_pk_bf16_f32 v134, v140, v141                         // 0000000049E0: D2680086 00031B8C
	v_cvt_pk_bf16_f32 v135, v142, v143                         // 0000000049E8: D2680087 00031F8E
	v_cvt_pk_bf16_f32 v136, v144, v145                         // 0000000049F0: D2680088 00032390
	v_cvt_pk_bf16_f32 v137, v146, v147                         // 0000000049F8: D2680089 00032792
	v_cvt_pk_bf16_f32 v138, v148, v149                         // 000000004A00: D268008A 00032B94
	v_cvt_pk_bf16_f32 v139, v150, v151                         // 000000004A08: D268008B 00032F96
	v_cvt_pk_bf16_f32 v140, v152, v153                         // 000000004A10: D268008C 00033398
	v_cvt_pk_bf16_f32 v141, v154, v155                         // 000000004A18: D268008D 0003379A
	v_cvt_pk_bf16_f32 v142, v156, v157                         // 000000004A20: D268008E 00033B9C
	v_cvt_pk_bf16_f32 v143, v158, v159                         // 000000004A28: D268008F 00033F9E
	s_cmp_ge_u32 s80, 0x200                                    // 000000004A30: BF09FF50 00000200
	s_cselect_b32 s59, 0x200, s59                              // 000000004A38: 853B3BFF 00000200
	s_setvskip s20, 0                                          // 000000004A40: BF108014
	global_atomic_pk_add_bf16 v80, v64, s[8:9]                 // 000000004A44: DD488000 00084050
	s_setvskip 0, 0                                            // 000000004A4C: BF108080
	s_setvskip s20, 0                                          // 000000004A50: BF108014
	global_atomic_pk_add_bf16 v80, v65, s[8:9] offset:256      // 000000004A54: DD488100 00084150
	s_setvskip 0, 0                                            // 000000004A5C: BF108080
	s_setvskip s20, 1                                          // 000000004A60: BF108114
	global_atomic_pk_add_bf16 v82, v66, s[8:9]                 // 000000004A64: DD488000 00084252
	s_setvskip 0, 0                                            // 000000004A6C: BF108080
	s_setvskip s20, 1                                          // 000000004A70: BF108114
	global_atomic_pk_add_bf16 v82, v67, s[8:9] offset:256      // 000000004A74: DD488100 00084352
	s_setvskip 0, 0                                            // 000000004A7C: BF108080
	s_setvskip s20, 2                                          // 000000004A80: BF108214
	global_atomic_pk_add_bf16 v84, v68, s[8:9]                 // 000000004A84: DD488000 00084454
	s_setvskip 0, 0                                            // 000000004A8C: BF108080
	s_setvskip s20, 2                                          // 000000004A90: BF108214
	global_atomic_pk_add_bf16 v84, v69, s[8:9] offset:256      // 000000004A94: DD488100 00084554
	s_setvskip 0, 0                                            // 000000004A9C: BF108080
	s_setvskip s20, 3                                          // 000000004AA0: BF108314
	global_atomic_pk_add_bf16 v86, v70, s[8:9]                 // 000000004AA4: DD488000 00084656
	s_setvskip 0, 0                                            // 000000004AAC: BF108080
	s_setvskip s20, 3                                          // 000000004AB0: BF108314
	global_atomic_pk_add_bf16 v86, v71, s[8:9] offset:256      // 000000004AB4: DD488100 00084756
	s_setvskip 0, 0                                            // 000000004ABC: BF108080
	s_setvskip s20, 4                                          // 000000004AC0: BF108414
	global_atomic_pk_add_bf16 v88, v72, s[8:9]                 // 000000004AC4: DD488000 00084858
	s_setvskip 0, 0                                            // 000000004ACC: BF108080
	s_setvskip s20, 4                                          // 000000004AD0: BF108414
	global_atomic_pk_add_bf16 v88, v73, s[8:9] offset:256      // 000000004AD4: DD488100 00084958
	s_setvskip 0, 0                                            // 000000004ADC: BF108080
	s_setvskip s20, 5                                          // 000000004AE0: BF108514
	global_atomic_pk_add_bf16 v90, v74, s[8:9]                 // 000000004AE4: DD488000 00084A5A
	s_setvskip 0, 0                                            // 000000004AEC: BF108080
	s_setvskip s20, 5                                          // 000000004AF0: BF108514
	global_atomic_pk_add_bf16 v90, v75, s[8:9] offset:256      // 000000004AF4: DD488100 00084B5A
	s_setvskip 0, 0                                            // 000000004AFC: BF108080
	s_setvskip s20, 6                                          // 000000004B00: BF108614
	global_atomic_pk_add_bf16 v92, v76, s[8:9]                 // 000000004B04: DD488000 00084C5C
	s_setvskip 0, 0                                            // 000000004B0C: BF108080
	s_setvskip s20, 6                                          // 000000004B10: BF108614
	global_atomic_pk_add_bf16 v92, v77, s[8:9] offset:256      // 000000004B14: DD488100 00084D5C
	s_setvskip 0, 0                                            // 000000004B1C: BF108080
	s_setvskip s20, 7                                          // 000000004B20: BF108714
	global_atomic_pk_add_bf16 v94, v78, s[8:9]                 // 000000004B24: DD488000 00084E5E
	s_setvskip 0, 0                                            // 000000004B2C: BF108080
	s_setvskip s20, 7                                          // 000000004B30: BF108714
	global_atomic_pk_add_bf16 v94, v79, s[8:9] offset:256      // 000000004B34: DD488100 00084F5E
	s_setvskip 0, 0                                            // 000000004B3C: BF108080
	s_add_u32 s8, s59, s8                                      // 000000004B40: 8008083B
	s_addc_u32 s9, 0, s9                                       // 000000004B44: 82090980
	s_addk_i32 s80, 0x100                                      // 000000004B48: B7500100
	s_cmp_lt_i32 s80, s81                                      // 000000004B4C: BF045150
	s_cbranch_scc0 label_086E                                  // 000000004B50: BF840119
	s_waitcnt vmcnt(4) lgkmcnt(0)                              // 000000004B54: BF8C0074
	s_barrier                                                  // 000000004B58: BF8A0000
	v_mfma_f32_16x16x128_f8f6f4 v[160:163], a[32:39], v[96:103], 0// 000000004B5C: D3AD00A0 0A02C120
	ds_read_b32 v64, v5 offset:38400                           // 000000004B64: D86C9600 40000005
	ds_read_b32 v65, v5 offset:42752                           // 000000004B6C: D86CA700 41000005
	ds_read_b32 v66, v5 offset:38408                           // 000000004B74: D86C9608 42000005
	ds_read_b32 v67, v5 offset:42760                           // 000000004B7C: D86CA708 43000005
	v_mfma_f32_16x16x128_f8f6f4 v[164:167], a[32:39], v[104:111], 0// 000000004B84: D3AD00A4 0A02D120
	buffer_load_dwordx4 a[0:3], v36, s[12:15], 0 offen         // 000000004B8C: E05C1000 80830024
	buffer_load_dwordx4 a[4:7], v36, s[12:15], 0 offen offset:1024// 000000004B94: E05C1400 80830424
	v_mfma_f32_16x16x128_f8f6f4 v[168:171], a[40:47], v[96:103], 0// 000000004B9C: D3AD00A8 0A02C128
	ds_read_b32 v68, v5 offset:38432                           // 000000004BA4: D86C9620 44000005
	ds_read_b32 v69, v5 offset:42784                           // 000000004BAC: D86CA720 45000005
	ds_read_b32 v70, v5 offset:38440                           // 000000004BB4: D86C9628 46000005
	ds_read_b32 v71, v5 offset:42792                           // 000000004BBC: D86CA728 47000005
	v_mfma_f32_16x16x128_f8f6f4 v[172:175], a[40:47], v[104:111], 0// 000000004BC4: D3AD00AC 0A02D128
	buffer_load_dwordx4 a[8:11], v37, s[12:15], 0 offen        // 000000004BCC: E05C1000 80830825
	buffer_load_dwordx4 a[12:15], v37, s[12:15], 0 offen offset:1024// 000000004BD4: E05C1400 80830C25
	buffer_load_dword v23, v6, s[16:19], 0 offen               // 000000004BDC: E0501000 80041706
	s_waitcnt vmcnt(5)                                         // 000000004BE4: BF8C0F75
	v_mfma_f32_16x16x128_f8f6f4 v[176:179], a[48:55], v[96:103], 0// 000000004BE8: D3AD00B0 0A02C130
	ds_read_b32 v72, v5 offset:47104                           // 000000004BF0: D86CB800 48000005
	ds_read_b32 v73, v5 offset:51456                           // 000000004BF8: D86CC900 49000005
	ds_read_b32 v74, v5 offset:47112                           // 000000004C00: D86CB808 4A000005
	ds_read_b32 v75, v5 offset:51464                           // 000000004C08: D86CC908 4B000005
	ds_write_b64 v4, v[128:129] offset:20992                   // 000000004C10: D89A5200 00008004
	ds_write_b64 v4, v[130:131] offset:29696                   // 000000004C18: D89A7400 00008204
	ds_write_b64 v4, v[132:133] offset:23168                   // 000000004C20: D89A5A80 00008404
	ds_write_b64 v4, v[134:135] offset:31872                   // 000000004C28: D89A7C80 00008604
	v_mfma_f32_16x16x128_f8f6f4 v[180:183], a[48:55], v[104:111], 0// 000000004C30: D3AD00B4 0A02D130
	buffer_load_dwordx4 a[16:19], v38, s[12:15], 0 offen       // 000000004C38: E05C1000 80831026
	buffer_load_dwordx4 a[20:23], v38, s[12:15], 0 offen offset:1024// 000000004C40: E05C1400 80831426
	v_mfma_f32_16x16x128_f8f6f4 v[184:187], a[56:63], v[96:103], 0// 000000004C48: D3AD00B8 0A02C138
	ds_read_b32 v76, v5 offset:47136                           // 000000004C50: D86CB820 4C000005
	ds_read_b32 v77, v5 offset:51488                           // 000000004C58: D86CC920 4D000005
	ds_read_b32 v78, v5 offset:47144                           // 000000004C60: D86CB828 4E000005
	ds_read_b32 v79, v5 offset:51496                           // 000000004C68: D86CC928 4F000005
	ds_write_b64 v4, v[136:137] offset:25344                   // 000000004C70: D89A6300 00008804
	ds_write_b64 v4, v[138:139] offset:34048                   // 000000004C78: D89A8500 00008A04
	ds_write_b64 v4, v[140:141] offset:27520                   // 000000004C80: D89A6B80 00008C04
	ds_write_b64 v4, v[142:143] offset:36224                   // 000000004C88: D89A8D80 00008E04
	v_mfma_f32_16x16x128_f8f6f4 v[188:191], a[56:63], v[104:111], 0// 000000004C90: D3AD00BC 0A02D138
	buffer_load_dwordx4 a[24:27], v39, s[12:15], 0 offen       // 000000004C98: E05C1000 80831827
	buffer_load_dwordx4 a[28:31], v39, s[12:15], 0 offen offset:1024// 000000004CA0: E05C1400 80831C27
	v_mul_f32_dpp v44, v24, v30 row_newbcast:0 row_mask:0xf bank_mask:0xf// 000000004CA8: 0A583CFA FF015018
	v_mov_b32_e32 v45, v44                                     // 000000004CB0: 7E5A032C
	v_pk_mul_f32 v[160:161], v[44:45], v[160:161]              // 000000004CB4: D3B140A0 1803412C
	v_pk_mul_f32 v[162:163], v[44:45], v[162:163]              // 000000004CBC: D3B140A2 1803452C
	v_pk_mul_f32 v[168:169], v[44:45], v[168:169]              // 000000004CC4: D3B140A8 1803512C
	v_pk_mul_f32 v[170:171], v[44:45], v[170:171]              // 000000004CCC: D3B140AA 1803552C
	v_mul_f32_dpp v44, v24, v30 row_newbcast:1 row_mask:0xf bank_mask:0xf// 000000004CD4: 0A583CFA FF015118
	v_mov_b32_e32 v45, v44                                     // 000000004CDC: 7E5A032C
	v_pk_mul_f32 v[176:177], v[44:45], v[176:177]              // 000000004CE0: D3B140B0 1803612C
	v_pk_mul_f32 v[178:179], v[44:45], v[178:179]              // 000000004CE8: D3B140B2 1803652C
	v_pk_mul_f32 v[184:185], v[44:45], v[184:185]              // 000000004CF0: D3B140B8 1803712C
	v_pk_mul_f32 v[186:187], v[44:45], v[186:187]              // 000000004CF8: D3B140BA 1803752C
	v_mul_f32_dpp v44, v24, v31 row_newbcast:0 row_mask:0xf bank_mask:0xf// 000000004D00: 0A583EFA FF015018
	v_mov_b32_e32 v45, v44                                     // 000000004D08: 7E5A032C
	v_pk_mul_f32 v[164:165], v[44:45], v[164:165]              // 000000004D0C: D3B140A4 1803492C
	v_pk_mul_f32 v[166:167], v[44:45], v[166:167]              // 000000004D14: D3B140A6 18034D2C
	v_pk_mul_f32 v[172:173], v[44:45], v[172:173]              // 000000004D1C: D3B140AC 1803592C
	v_pk_mul_f32 v[174:175], v[44:45], v[174:175]              // 000000004D24: D3B140AE 18035D2C
	v_mul_f32_dpp v44, v24, v31 row_newbcast:1 row_mask:0xf bank_mask:0xf// 000000004D2C: 0A583EFA FF015118
	v_mov_b32_e32 v45, v44                                     // 000000004D34: 7E5A032C
	v_pk_mul_f32 v[180:181], v[44:45], v[180:181]              // 000000004D38: D3B140B4 1803692C
	v_pk_mul_f32 v[182:183], v[44:45], v[182:183]              // 000000004D40: D3B140B6 18036D2C
	v_pk_mul_f32 v[188:189], v[44:45], v[188:189]              // 000000004D48: D3B140BC 1803792C
	v_pk_mul_f32 v[190:191], v[44:45], v[190:191]              // 000000004D50: D3B140BE 18037D2C
	s_add_u32 s60, 0x200, s80                                  // 000000004D58: 803C50FF 00000200
	s_cmp_lt_u32 s60, s81                                      // 000000004D60: BF0A513C
	s_cselect_b32 s56, s56, 0                                  // 000000004D64: 85388038
	s_cselect_b32 s78, s78, 0                                  // 000000004D68: 854E804E
	s_cselect_b32 s79, s79, 0                                  // 000000004D6C: 854F804F
	s_add_u32 s12, s56, s12                                    // 000000004D70: 800C0C38
	s_addc_u32 s13, 0, s13                                     // 000000004D74: 820D0D80
	s_add_u32 s16, s79, s16                                    // 000000004D78: 8010104F
	s_addc_u32 s17, 0, s17                                     // 000000004D7C: 82111180
	v_mov_b32_e32 v44, v25                                     // 000000004D80: 7E580319
	v_mov_b32_e32 v45, v25                                     // 000000004D84: 7E5A0319
	v_pk_mul_f32 v[160:161], v[44:45], v[160:161]              // 000000004D88: D3B140A0 1803412C
	v_pk_mul_f32 v[162:163], v[44:45], v[162:163]              // 000000004D90: D3B140A2 1803452C
	v_pk_mul_f32 v[168:169], v[44:45], v[168:169]              // 000000004D98: D3B140A8 1803512C
	v_pk_mul_f32 v[170:171], v[44:45], v[170:171]              // 000000004DA0: D3B140AA 1803552C
	v_pk_mul_f32 v[176:177], v[44:45], v[176:177]              // 000000004DA8: D3B140B0 1803612C
	v_pk_mul_f32 v[178:179], v[44:45], v[178:179]              // 000000004DB0: D3B140B2 1803652C
	v_pk_mul_f32 v[184:185], v[44:45], v[184:185]              // 000000004DB8: D3B140B8 1803712C
	v_pk_mul_f32 v[186:187], v[44:45], v[186:187]              // 000000004DC0: D3B140BA 1803752C
	v_mov_b32_e32 v44, v26                                     // 000000004DC8: 7E58031A
	v_mov_b32_e32 v45, v26                                     // 000000004DCC: 7E5A031A
	v_pk_mul_f32 v[164:165], v[44:45], v[164:165]              // 000000004DD0: D3B140A4 1803492C
	v_pk_mul_f32 v[166:167], v[44:45], v[166:167]              // 000000004DD8: D3B140A6 18034D2C
	v_pk_mul_f32 v[172:173], v[44:45], v[172:173]              // 000000004DE0: D3B140AC 1803592C
	v_pk_mul_f32 v[174:175], v[44:45], v[174:175]              // 000000004DE8: D3B140AE 18035D2C
	v_pk_mul_f32 v[180:181], v[44:45], v[180:181]              // 000000004DF0: D3B140B4 1803692C
	v_pk_mul_f32 v[182:183], v[44:45], v[182:183]              // 000000004DF8: D3B140B6 18036D2C
	v_pk_mul_f32 v[188:189], v[44:45], v[188:189]              // 000000004E00: D3B140BC 1803792C
	v_pk_mul_f32 v[190:191], v[44:45], v[190:191]              // 000000004E08: D3B140BE 18037D2C
	v_cvt_pk_bf16_f32 v160, v160, v161                         // 000000004E10: D26800A0 000343A0
	v_cvt_pk_bf16_f32 v161, v162, v163                         // 000000004E18: D26800A1 000347A2
	v_cvt_pk_bf16_f32 v162, v164, v165                         // 000000004E20: D26800A2 00034BA4
	v_cvt_pk_bf16_f32 v163, v166, v167                         // 000000004E28: D26800A3 00034FA6
	v_cvt_pk_bf16_f32 v164, v168, v169                         // 000000004E30: D26800A4 000353A8
	v_cvt_pk_bf16_f32 v165, v170, v171                         // 000000004E38: D26800A5 000357AA
	v_cvt_pk_bf16_f32 v166, v172, v173                         // 000000004E40: D26800A6 00035BAC
	v_cvt_pk_bf16_f32 v167, v174, v175                         // 000000004E48: D26800A7 00035FAE
	v_cvt_pk_bf16_f32 v168, v176, v177                         // 000000004E50: D26800A8 000363B0
	v_cvt_pk_bf16_f32 v169, v178, v179                         // 000000004E58: D26800A9 000367B2
	v_cvt_pk_bf16_f32 v170, v180, v181                         // 000000004E60: D26800AA 00036BB4
	v_cvt_pk_bf16_f32 v171, v182, v183                         // 000000004E68: D26800AB 00036FB6
	v_cvt_pk_bf16_f32 v172, v184, v185                         // 000000004E70: D26800AC 000373B8
	v_cvt_pk_bf16_f32 v173, v186, v187                         // 000000004E78: D26800AD 000377BA
	v_cvt_pk_bf16_f32 v174, v188, v189                         // 000000004E80: D26800AE 00037BBC
	v_cvt_pk_bf16_f32 v175, v190, v191                         // 000000004E88: D26800AF 00037FBE
	s_cmp_ge_u32 s80, 0x200                                    // 000000004E90: BF09FF50 00000200
	s_cselect_b32 s59, 0x200, s59                              // 000000004E98: 853B3BFF 00000200
	s_setvskip s20, 0                                          // 000000004EA0: BF108014
	global_atomic_pk_add_bf16 v80, v64, s[8:9]                 // 000000004EA4: DD488000 00084050
	s_setvskip 0, 0                                            // 000000004EAC: BF108080
	s_setvskip s20, 0                                          // 000000004EB0: BF108014
	global_atomic_pk_add_bf16 v80, v65, s[8:9] offset:256      // 000000004EB4: DD488100 00084150
	s_setvskip 0, 0                                            // 000000004EBC: BF108080
	s_setvskip s20, 1                                          // 000000004EC0: BF108114
	global_atomic_pk_add_bf16 v82, v66, s[8:9]                 // 000000004EC4: DD488000 00084252
	s_setvskip 0, 0                                            // 000000004ECC: BF108080
	s_setvskip s20, 1                                          // 000000004ED0: BF108114
	global_atomic_pk_add_bf16 v82, v67, s[8:9] offset:256      // 000000004ED4: DD488100 00084352
	s_setvskip 0, 0                                            // 000000004EDC: BF108080
	s_setvskip s20, 2                                          // 000000004EE0: BF108214
	global_atomic_pk_add_bf16 v84, v68, s[8:9]                 // 000000004EE4: DD488000 00084454
	s_setvskip 0, 0                                            // 000000004EEC: BF108080
	s_setvskip s20, 2                                          // 000000004EF0: BF108214
	global_atomic_pk_add_bf16 v84, v69, s[8:9] offset:256      // 000000004EF4: DD488100 00084554
	s_setvskip 0, 0                                            // 000000004EFC: BF108080
	s_setvskip s20, 3                                          // 000000004F00: BF108314
	global_atomic_pk_add_bf16 v86, v70, s[8:9]                 // 000000004F04: DD488000 00084656
	s_setvskip 0, 0                                            // 000000004F0C: BF108080
	s_setvskip s20, 3                                          // 000000004F10: BF108314
	global_atomic_pk_add_bf16 v86, v71, s[8:9] offset:256      // 000000004F14: DD488100 00084756
	s_setvskip 0, 0                                            // 000000004F1C: BF108080
	s_setvskip s20, 4                                          // 000000004F20: BF108414
	global_atomic_pk_add_bf16 v88, v72, s[8:9]                 // 000000004F24: DD488000 00084858
	s_setvskip 0, 0                                            // 000000004F2C: BF108080
	s_setvskip s20, 4                                          // 000000004F30: BF108414
	global_atomic_pk_add_bf16 v88, v73, s[8:9] offset:256      // 000000004F34: DD488100 00084958
	s_setvskip 0, 0                                            // 000000004F3C: BF108080
	s_setvskip s20, 5                                          // 000000004F40: BF108514
	global_atomic_pk_add_bf16 v90, v74, s[8:9]                 // 000000004F44: DD488000 00084A5A
	s_setvskip 0, 0                                            // 000000004F4C: BF108080
	s_setvskip s20, 5                                          // 000000004F50: BF108514
	global_atomic_pk_add_bf16 v90, v75, s[8:9] offset:256      // 000000004F54: DD488100 00084B5A
	s_setvskip 0, 0                                            // 000000004F5C: BF108080
	s_setvskip s20, 6                                          // 000000004F60: BF108614
	global_atomic_pk_add_bf16 v92, v76, s[8:9]                 // 000000004F64: DD488000 00084C5C
	s_setvskip 0, 0                                            // 000000004F6C: BF108080
	s_setvskip s20, 6                                          // 000000004F70: BF108614
	global_atomic_pk_add_bf16 v92, v77, s[8:9] offset:256      // 000000004F74: DD488100 00084D5C
	s_setvskip 0, 0                                            // 000000004F7C: BF108080
	s_setvskip s20, 7                                          // 000000004F80: BF108714
	global_atomic_pk_add_bf16 v94, v78, s[8:9]                 // 000000004F84: DD488000 00084E5E
	s_setvskip 0, 0                                            // 000000004F8C: BF108080
	s_setvskip s20, 7                                          // 000000004F90: BF108714
	global_atomic_pk_add_bf16 v94, v79, s[8:9] offset:256      // 000000004F94: DD488100 00084F5E
	s_setvskip 0, 0                                            // 000000004F9C: BF108080
	s_add_u32 s8, s59, s8                                      // 000000004FA0: 8008083B
	s_addc_u32 s9, 0, s9                                       // 000000004FA4: 82090980
	s_addk_i32 s80, 0x100                                      // 000000004FA8: B7500100
	s_cmp_lt_i32 s80, s81                                      // 000000004FAC: BF045150
	s_cbranch_scc0 label_086E                                  // 000000004FB0: BF840001
	s_branch label_063D                                        // 000000004FB4: BF82FDCF

0000000000004fb8 <label_086E>:
	s_nop 0                                                    // 000000004FB8: BF800000
	s_nop 0                                                    // 000000004FBC: BF800000
	s_branch label_0E1D                                        // 000000004FC0: BF8205AC

0000000000004fc4 <label_0871>:
	s_waitcnt vmcnt(6) lgkmcnt(0)                              // 000000004FC4: BF8C0076
	s_barrier                                                  // 000000004FC8: BF8A0000
	v_mfma_f32_16x16x128_f8f6f4 v[112:115], a[0:7], v[128:135], 0// 000000004FCC: D3AD0070 0A030100
	buffer_load_dword v24, v13, s[32:35], 0 offen              // 000000004FD4: E0501000 8008180D
	buffer_load_dwordx4 a[32:35], v34, s[92:95], 0 offen       // 000000004FDC: E05C1000 80972022
	buffer_load_dwordx4 a[36:39], v34, s[92:95], 0 offen offset:1024// 000000004FE4: E05C1400 80972422
	buffer_load_dwordx4 v32, s[20:23], 0 offen lds             // 000000004FEC: E05D1000 80050020
	s_add_u32 m0, 0x1080, s51                                  // 000000004FF4: 807C33FF 00001080
	buffer_load_dwordx4 v33, s[20:23], 0 offen lds             // 000000004FFC: E05D1000 80050021
	s_add_u32 m0, m0, s76                                      // 000000005004: 807C4C7C
	buffer_load_dword v7, s[28:31], 0 offen lds                // 000000005008: E0511000 80070007
	s_add_u32 m0, 0, s50                                       // 000000005010: 807C3280
	v_mfma_f32_16x16x128_f8f6f4 v[116:119], a[0:7], v[144:151], 0// 000000005014: D3AD0074 0A032100
	s_waitcnt vmcnt(10)                                        // 00000000501C: BF8C0F7A
	v_mfma_f32_16x16x128_f8f6f4 v[120:123], a[8:15], v[128:135], 0// 000000005020: D3AD0078 0A030108
	buffer_load_dwordx4 a[40:43], v35, s[92:95], 0 offen       // 000000005028: E05C1000 80972823
	buffer_load_dwordx4 a[44:47], v35, s[92:95], 0 offen offset:1024// 000000005030: E05C1400 80972C23
	v_mfma_f32_16x16x128_f8f6f4 v[124:127], a[8:15], v[144:151], 0// 000000005038: D3AD007C 0A032108
	v_mul_f32_dpp v44, v23, v15 row_newbcast:0 row_mask:0xf bank_mask:0xf// 000000005040: 0A581EFA FF015017
	v_mov_b32_e32 v45, v44                                     // 000000005048: 7E5A032C
	v_pk_fma_f32 v[96:97], v[112:113], v[44:45], v[96:97]      // 00000000504C: D3B04060 1D825970
	v_pk_fma_f32 v[98:99], v[114:115], v[44:45], v[98:99]      // 000000005054: D3B04062 1D8A5972
	v_pk_fma_f32 v[104:105], v[120:121], v[44:45], v[104:105]  // 00000000505C: D3B04068 1DA25978
	v_pk_fma_f32 v[106:107], v[122:123], v[44:45], v[106:107]  // 000000005064: D3B0406A 1DAA597A
	v_mul_f32_dpp v44, v23, v16 row_newbcast:0 row_mask:0xf bank_mask:0xf// 00000000506C: 0A5820FA FF015017
	v_mov_b32_e32 v45, v44                                     // 000000005074: 7E5A032C
	v_pk_fma_f32 v[100:101], v[116:117], v[44:45], v[100:101]  // 000000005078: D3B04064 1D925974
	v_pk_fma_f32 v[102:103], v[118:119], v[44:45], v[102:103]  // 000000005080: D3B04066 1D9A5976
	v_pk_fma_f32 v[108:109], v[124:125], v[44:45], v[108:109]  // 000000005088: D3B0406C 1DB2597C
	v_pk_fma_f32 v[110:111], v[126:127], v[44:45], v[110:111]  // 000000005090: D3B0406E 1DBA597E
	s_waitcnt vmcnt(10)                                        // 000000005098: BF8C0F7A
	v_mfma_f32_16x16x128_f8f6f4 v[112:115], a[16:23], v[136:143], 0// 00000000509C: D3AD0070 0A031110
	buffer_load_dwordx4 a[48:51], v34, s[92:95], 0 offen offset:2048// 0000000050A4: E05C1800 80973022
	buffer_load_dwordx4 a[52:55], v34, s[92:95], 0 offen offset:3072// 0000000050AC: E05C1C00 80973422
	v_mfma_f32_16x16x128_f8f6f4 v[116:119], a[16:23], v[152:159], 0// 0000000050B4: D3AD0074 0A033110
	s_waitcnt vmcnt(10)                                        // 0000000050BC: BF8C0F7A
	v_mfma_f32_16x16x128_f8f6f4 v[120:123], a[24:31], v[136:143], 0// 0000000050C0: D3AD0078 0A031118
	buffer_load_dwordx4 a[56:59], v35, s[92:95], 0 offen offset:2048// 0000000050C8: E05C1800 80973823
	buffer_load_dwordx4 a[60:63], v35, s[92:95], 0 offen offset:3072// 0000000050D0: E05C1C00 80973C23
	v_mfma_f32_16x16x128_f8f6f4 v[124:127], a[24:31], v[152:159], 0// 0000000050D8: D3AD007C 0A033118
	v_mul_f32_dpp v44, v23, v17 row_newbcast:2 row_mask:0xf bank_mask:0xf// 0000000050E0: 0A5822FA FF015217
	v_mov_b32_e32 v45, v44                                     // 0000000050E8: 7E5A032C
	v_pk_fma_f32 v[96:97], v[112:113], v[44:45], v[96:97]      // 0000000050EC: D3B04060 1D825970
	v_pk_fma_f32 v[98:99], v[114:115], v[44:45], v[98:99]      // 0000000050F4: D3B04062 1D8A5972
	v_pk_fma_f32 v[104:105], v[120:121], v[44:45], v[104:105]  // 0000000050FC: D3B04068 1DA25978
	v_pk_fma_f32 v[106:107], v[122:123], v[44:45], v[106:107]  // 000000005104: D3B0406A 1DAA597A
	v_mul_f32_dpp v44, v23, v18 row_newbcast:2 row_mask:0xf bank_mask:0xf// 00000000510C: 0A5824FA FF015217
	v_mov_b32_e32 v45, v44                                     // 000000005114: 7E5A032C
	v_pk_fma_f32 v[100:101], v[116:117], v[44:45], v[100:101]  // 000000005118: D3B04064 1D925974
	v_pk_fma_f32 v[102:103], v[118:119], v[44:45], v[102:103]  // 000000005120: D3B04066 1D9A5976
	v_pk_fma_f32 v[108:109], v[124:125], v[44:45], v[108:109]  // 000000005128: D3B0406C 1DB2597C
	v_pk_fma_f32 v[110:111], v[126:127], v[44:45], v[110:111]  // 000000005130: D3B0406E 1DBA597E
	s_add_u32 s60, 0x100, s80                                  // 000000005138: 803C50FF 00000100
	s_cmp_lt_u32 s60, s81                                      // 000000005140: BF0A513C
	s_cselect_b32 s4, s4, 0                                    // 000000005144: 85048004
	s_add_u32 s32, s4, s32                                     // 000000005148: 80202004
	s_addc_u32 s33, 0, s33                                     // 00000000514C: 82212180
	s_waitcnt vmcnt(9)                                         // 000000005150: BF8C0F79
	s_barrier                                                  // 000000005154: BF8A0000
	v_mfma_f32_16x16x128_f8f6f4 v[112:115], a[32:39], v[128:135], 0// 000000005158: D3AD0070 0A030120
	buffer_load_dword v23, v11, s[32:35], 0 offen              // 000000005160: E0501000 8008170B
	buffer_load_dwordx4 a[0:3], v34, s[24:27], 0 offen         // 000000005168: E05C1000 80860022
	buffer_load_dwordx4 a[4:7], v34, s[24:27], 0 offen offset:1024// 000000005170: E05C1400 80860422
	v_mfma_f32_16x16x128_f8f6f4 v[116:119], a[32:39], v[144:151], 0// 000000005178: D3AD0074 0A032120
	s_waitcnt vmcnt(7)                                         // 000000005180: BF8C0F77
	v_mfma_f32_16x16x128_f8f6f4 v[120:123], a[40:47], v[128:135], 0// 000000005184: D3AD0078 0A030128
	buffer_load_dwordx4 a[8:11], v35, s[24:27], 0 offen        // 00000000518C: E05C1000 80860823
	buffer_load_dwordx4 a[12:15], v35, s[24:27], 0 offen offset:1024// 000000005194: E05C1400 80860C23
	v_mfma_f32_16x16x128_f8f6f4 v[124:127], a[40:47], v[144:151], 0// 00000000519C: D3AD007C 0A032128
	v_mul_f32_dpp v44, v24, v15 row_newbcast:0 row_mask:0xf bank_mask:0xf// 0000000051A4: 0A581EFA FF015018
	v_mov_b32_e32 v45, v44                                     // 0000000051AC: 7E5A032C
	v_pk_fma_f32 v[64:65], v[112:113], v[44:45], v[64:65]      // 0000000051B0: D3B04040 1D025970
	v_pk_fma_f32 v[66:67], v[114:115], v[44:45], v[66:67]      // 0000000051B8: D3B04042 1D0A5972
	v_pk_fma_f32 v[72:73], v[120:121], v[44:45], v[72:73]      // 0000000051C0: D3B04048 1D225978
	v_pk_fma_f32 v[74:75], v[122:123], v[44:45], v[74:75]      // 0000000051C8: D3B0404A 1D2A597A
	v_mul_f32_dpp v44, v24, v16 row_newbcast:0 row_mask:0xf bank_mask:0xf// 0000000051D0: 0A5820FA FF015018
	v_mov_b32_e32 v45, v44                                     // 0000000051D8: 7E5A032C
	v_pk_fma_f32 v[68:69], v[116:117], v[44:45], v[68:69]      // 0000000051DC: D3B04044 1D125974
	v_pk_fma_f32 v[70:71], v[118:119], v[44:45], v[70:71]      // 0000000051E4: D3B04046 1D1A5976
	v_pk_fma_f32 v[76:77], v[124:125], v[44:45], v[76:77]      // 0000000051EC: D3B0404C 1D32597C
	v_pk_fma_f32 v[78:79], v[126:127], v[44:45], v[78:79]      // 0000000051F4: D3B0404E 1D3A597E
	s_waitcnt vmcnt(7)                                         // 0000000051FC: BF8C0F77
	v_mfma_f32_16x16x128_f8f6f4 v[112:115], a[48:55], v[136:143], 0// 000000005200: D3AD0070 0A031130
	buffer_load_dwordx4 a[16:19], v34, s[24:27], 0 offen offset:2048// 000000005208: E05C1800 80861022
	buffer_load_dwordx4 a[20:23], v34, s[24:27], 0 offen offset:3072// 000000005210: E05C1C00 80861422
	v_mfma_f32_16x16x128_f8f6f4 v[116:119], a[48:55], v[152:159], 0// 000000005218: D3AD0074 0A033130
	s_waitcnt lgkmcnt(0)                                       // 000000005220: BF8CC07F
	s_barrier                                                  // 000000005224: BF8A0000
	ds_read_b128 v[160:163], v2 offset:9472                    // 000000005228: D9FE2500 A0000002
	ds_read_b128 v[164:167], v2 offset:9536                    // 000000005230: D9FE2540 A4000002
	ds_read_b128 v[168:171], v2 offset:13696                   // 000000005238: D9FE3580 A8000002
	ds_read_b128 v[172:175], v2 offset:13760                   // 000000005240: D9FE35C0 AC000002
	ds_read_b32 v19, v3 offset:17920                           // 000000005248: D86C4600 13000003
	ds_read_b32 v20, v3 offset:18176                           // 000000005250: D86C4700 14000003
	s_waitcnt vmcnt(7)                                         // 000000005258: BF8C0F77
	v_mfma_f32_16x16x128_f8f6f4 v[120:123], a[56:63], v[136:143], 0// 00000000525C: D3AD0078 0A031138
	buffer_load_dwordx4 a[24:27], v35, s[24:27], 0 offen offset:2048// 000000005264: E05C1800 80861823
	buffer_load_dwordx4 a[28:31], v35, s[24:27], 0 offen offset:3072// 00000000526C: E05C1C00 80861C23
	v_mfma_f32_16x16x128_f8f6f4 v[124:127], a[56:63], v[152:159], 0// 000000005274: D3AD007C 0A033138
	ds_read_b128 v[176:179], v2 offset:9984                    // 00000000527C: D9FE2700 B0000002
	ds_read_b128 v[180:183], v2 offset:10048                   // 000000005284: D9FE2740 B4000002
	ds_read_b128 v[184:187], v2 offset:14208                   // 00000000528C: D9FE3780 B8000002
	ds_read_b128 v[188:191], v2 offset:14272                   // 000000005294: D9FE37C0 BC000002
	ds_read_b32 v21, v3 offset:18432                           // 00000000529C: D86C4800 15000003
	ds_read_b32 v22, v3 offset:18688                           // 0000000052A4: D86C4900 16000003
	v_mul_f32_dpp v44, v24, v17 row_newbcast:2 row_mask:0xf bank_mask:0xf// 0000000052AC: 0A5822FA FF015218
	v_mov_b32_e32 v45, v44                                     // 0000000052B4: 7E5A032C
	v_pk_fma_f32 v[64:65], v[112:113], v[44:45], v[64:65]      // 0000000052B8: D3B04040 1D025970
	v_pk_fma_f32 v[66:67], v[114:115], v[44:45], v[66:67]      // 0000000052C0: D3B04042 1D0A5972
	v_pk_fma_f32 v[72:73], v[120:121], v[44:45], v[72:73]      // 0000000052C8: D3B04048 1D225978
	v_pk_fma_f32 v[74:75], v[122:123], v[44:45], v[74:75]      // 0000000052D0: D3B0404A 1D2A597A
	v_mul_f32_dpp v44, v24, v18 row_newbcast:2 row_mask:0xf bank_mask:0xf// 0000000052D8: 0A5824FA FF015218
	v_mov_b32_e32 v45, v44                                     // 0000000052E0: 7E5A032C
	v_pk_fma_f32 v[68:69], v[116:117], v[44:45], v[68:69]      // 0000000052E4: D3B04044 1D125974
	v_pk_fma_f32 v[70:71], v[118:119], v[44:45], v[70:71]      // 0000000052EC: D3B04046 1D1A5976
	v_pk_fma_f32 v[76:77], v[124:125], v[44:45], v[76:77]      // 0000000052F4: D3B0404C 1D32597C
	v_pk_fma_f32 v[78:79], v[126:127], v[44:45], v[78:79]      // 0000000052FC: D3B0404E 1D3A597E
	s_add_u32 s60, 0x200, s80                                  // 000000005304: 803C50FF 00000200
	s_cmp_lt_u32 s60, s81                                      // 00000000530C: BF0A513C
	s_cselect_b32 s57, s57, 0                                  // 000000005310: 85398039
	s_cselect_b32 s3, s3, 0                                    // 000000005314: 85038003
	s_add_u32 s60, 0x200, s80                                  // 000000005318: 803C50FF 00000200
	s_cmp_lt_u32 s60, s81                                      // 000000005320: BF0A513C
	s_cselect_b32 s58, s58, 0                                  // 000000005324: 853A803A
	s_add_u32 s20, s57, s20                                    // 000000005328: 80141439
	s_addc_u32 s21, 0, s21                                     // 00000000532C: 82151580
	s_add_u32 s28, s3, s28                                     // 000000005330: 801C1C03
	s_addc_u32 s29, 0, s29                                     // 000000005334: 821D1D80
	s_add_u32 s24, s58, s24                                    // 000000005338: 8018183A
	s_addc_u32 s25, 0, s25                                     // 00000000533C: 82191980
	s_add_u32 s92, s90, s92                                    // 000000005340: 805C5C5A
	s_addc_u32 s93, 0, s93                                     // 000000005344: 825D5D80
	s_addk_i32 s80, 0x100                                      // 000000005348: B7500100
	s_cmp_lt_i32 s80, s81                                      // 00000000534C: BF045150
	s_cbranch_scc0 label_0A3A                                  // 000000005350: BF8400E5
	s_waitcnt vmcnt(6) lgkmcnt(0)                              // 000000005354: BF8C0076
	s_barrier                                                  // 000000005358: BF8A0000
	v_mfma_f32_16x16x128_f8f6f4 v[112:115], a[0:7], v[160:167], 0// 00000000535C: D3AD0070 0A034100
	buffer_load_dword v24, v13, s[32:35], 0 offen              // 000000005364: E0501000 8008180D
	buffer_load_dwordx4 a[32:35], v34, s[92:95], 0 offen       // 00000000536C: E05C1000 80972022
	buffer_load_dwordx4 a[36:39], v34, s[92:95], 0 offen offset:1024// 000000005374: E05C1400 80972422
	buffer_load_dwordx4 v32, s[20:23], 0 offen lds             // 00000000537C: E05D1000 80050020
	s_add_u32 m0, 0x1080, s50                                  // 000000005384: 807C32FF 00001080
	buffer_load_dwordx4 v33, s[20:23], 0 offen lds             // 00000000538C: E05D1000 80050021
	s_add_u32 m0, m0, s76                                      // 000000005394: 807C4C7C
	buffer_load_dword v7, s[28:31], 0 offen lds                // 000000005398: E0511000 80070007
	s_add_u32 m0, 0, s51                                       // 0000000053A0: 807C3380
	v_mfma_f32_16x16x128_f8f6f4 v[116:119], a[0:7], v[176:183], 0// 0000000053A4: D3AD0074 0A036100
	s_waitcnt vmcnt(10)                                        // 0000000053AC: BF8C0F7A
	v_mfma_f32_16x16x128_f8f6f4 v[120:123], a[8:15], v[160:167], 0// 0000000053B0: D3AD0078 0A034108
	buffer_load_dwordx4 a[40:43], v35, s[92:95], 0 offen       // 0000000053B8: E05C1000 80972823
	buffer_load_dwordx4 a[44:47], v35, s[92:95], 0 offen offset:1024// 0000000053C0: E05C1400 80972C23
	v_mfma_f32_16x16x128_f8f6f4 v[124:127], a[8:15], v[176:183], 0// 0000000053C8: D3AD007C 0A036108
	v_mul_f32_dpp v44, v23, v19 row_newbcast:0 row_mask:0xf bank_mask:0xf// 0000000053D0: 0A5826FA FF015017
	v_mov_b32_e32 v45, v44                                     // 0000000053D8: 7E5A032C
	v_pk_fma_f32 v[96:97], v[112:113], v[44:45], v[96:97]      // 0000000053DC: D3B04060 1D825970
	v_pk_fma_f32 v[98:99], v[114:115], v[44:45], v[98:99]      // 0000000053E4: D3B04062 1D8A5972
	v_pk_fma_f32 v[104:105], v[120:121], v[44:45], v[104:105]  // 0000000053EC: D3B04068 1DA25978
	v_pk_fma_f32 v[106:107], v[122:123], v[44:45], v[106:107]  // 0000000053F4: D3B0406A 1DAA597A
	v_mul_f32_dpp v44, v23, v20 row_newbcast:0 row_mask:0xf bank_mask:0xf// 0000000053FC: 0A5828FA FF015017
	v_mov_b32_e32 v45, v44                                     // 000000005404: 7E5A032C
	v_pk_fma_f32 v[100:101], v[116:117], v[44:45], v[100:101]  // 000000005408: D3B04064 1D925974
	v_pk_fma_f32 v[102:103], v[118:119], v[44:45], v[102:103]  // 000000005410: D3B04066 1D9A5976
	v_pk_fma_f32 v[108:109], v[124:125], v[44:45], v[108:109]  // 000000005418: D3B0406C 1DB2597C
	v_pk_fma_f32 v[110:111], v[126:127], v[44:45], v[110:111]  // 000000005420: D3B0406E 1DBA597E
	s_waitcnt vmcnt(10)                                        // 000000005428: BF8C0F7A
	v_mfma_f32_16x16x128_f8f6f4 v[112:115], a[16:23], v[168:175], 0// 00000000542C: D3AD0070 0A035110
	buffer_load_dwordx4 a[48:51], v34, s[92:95], 0 offen offset:2048// 000000005434: E05C1800 80973022
	buffer_load_dwordx4 a[52:55], v34, s[92:95], 0 offen offset:3072// 00000000543C: E05C1C00 80973422
	v_mfma_f32_16x16x128_f8f6f4 v[116:119], a[16:23], v[184:191], 0// 000000005444: D3AD0074 0A037110
	s_waitcnt vmcnt(10)                                        // 00000000544C: BF8C0F7A
	v_mfma_f32_16x16x128_f8f6f4 v[120:123], a[24:31], v[168:175], 0// 000000005450: D3AD0078 0A035118
	buffer_load_dwordx4 a[56:59], v35, s[92:95], 0 offen offset:2048// 000000005458: E05C1800 80973823
	buffer_load_dwordx4 a[60:63], v35, s[92:95], 0 offen offset:3072// 000000005460: E05C1C00 80973C23
	v_mfma_f32_16x16x128_f8f6f4 v[124:127], a[24:31], v[184:191], 0// 000000005468: D3AD007C 0A037118
	v_mul_f32_dpp v44, v23, v21 row_newbcast:2 row_mask:0xf bank_mask:0xf// 000000005470: 0A582AFA FF015217
	v_mov_b32_e32 v45, v44                                     // 000000005478: 7E5A032C
	v_pk_fma_f32 v[96:97], v[112:113], v[44:45], v[96:97]      // 00000000547C: D3B04060 1D825970
	v_pk_fma_f32 v[98:99], v[114:115], v[44:45], v[98:99]      // 000000005484: D3B04062 1D8A5972
	v_pk_fma_f32 v[104:105], v[120:121], v[44:45], v[104:105]  // 00000000548C: D3B04068 1DA25978
	v_pk_fma_f32 v[106:107], v[122:123], v[44:45], v[106:107]  // 000000005494: D3B0406A 1DAA597A
	v_mul_f32_dpp v44, v23, v22 row_newbcast:2 row_mask:0xf bank_mask:0xf// 00000000549C: 0A582CFA FF015217
	v_mov_b32_e32 v45, v44                                     // 0000000054A4: 7E5A032C
	v_pk_fma_f32 v[100:101], v[116:117], v[44:45], v[100:101]  // 0000000054A8: D3B04064 1D925974
	v_pk_fma_f32 v[102:103], v[118:119], v[44:45], v[102:103]  // 0000000054B0: D3B04066 1D9A5976
	v_pk_fma_f32 v[108:109], v[124:125], v[44:45], v[108:109]  // 0000000054B8: D3B0406C 1DB2597C
	v_pk_fma_f32 v[110:111], v[126:127], v[44:45], v[110:111]  // 0000000054C0: D3B0406E 1DBA597E
	s_add_u32 s60, 0x100, s80                                  // 0000000054C8: 803C50FF 00000100
	s_cmp_lt_u32 s60, s81                                      // 0000000054D0: BF0A513C
	s_cselect_b32 s4, s4, 0                                    // 0000000054D4: 85048004
	s_add_u32 s32, s4, s32                                     // 0000000054D8: 80202004
	s_addc_u32 s33, 0, s33                                     // 0000000054DC: 82212180
	s_waitcnt vmcnt(9)                                         // 0000000054E0: BF8C0F79
	s_barrier                                                  // 0000000054E4: BF8A0000
	v_mfma_f32_16x16x128_f8f6f4 v[112:115], a[32:39], v[160:167], 0// 0000000054E8: D3AD0070 0A034120
	buffer_load_dword v23, v11, s[32:35], 0 offen              // 0000000054F0: E0501000 8008170B
	buffer_load_dwordx4 a[0:3], v34, s[24:27], 0 offen         // 0000000054F8: E05C1000 80860022
	buffer_load_dwordx4 a[4:7], v34, s[24:27], 0 offen offset:1024// 000000005500: E05C1400 80860422
	v_mfma_f32_16x16x128_f8f6f4 v[116:119], a[32:39], v[176:183], 0// 000000005508: D3AD0074 0A036120
	s_waitcnt vmcnt(7)                                         // 000000005510: BF8C0F77
	v_mfma_f32_16x16x128_f8f6f4 v[120:123], a[40:47], v[160:167], 0// 000000005514: D3AD0078 0A034128
	buffer_load_dwordx4 a[8:11], v35, s[24:27], 0 offen        // 00000000551C: E05C1000 80860823
	buffer_load_dwordx4 a[12:15], v35, s[24:27], 0 offen offset:1024// 000000005524: E05C1400 80860C23
	v_mfma_f32_16x16x128_f8f6f4 v[124:127], a[40:47], v[176:183], 0// 00000000552C: D3AD007C 0A036128
	v_mul_f32_dpp v44, v24, v19 row_newbcast:0 row_mask:0xf bank_mask:0xf// 000000005534: 0A5826FA FF015018
	v_mov_b32_e32 v45, v44                                     // 00000000553C: 7E5A032C
	v_pk_fma_f32 v[64:65], v[112:113], v[44:45], v[64:65]      // 000000005540: D3B04040 1D025970
	v_pk_fma_f32 v[66:67], v[114:115], v[44:45], v[66:67]      // 000000005548: D3B04042 1D0A5972
	v_pk_fma_f32 v[72:73], v[120:121], v[44:45], v[72:73]      // 000000005550: D3B04048 1D225978
	v_pk_fma_f32 v[74:75], v[122:123], v[44:45], v[74:75]      // 000000005558: D3B0404A 1D2A597A
	v_mul_f32_dpp v44, v24, v20 row_newbcast:0 row_mask:0xf bank_mask:0xf// 000000005560: 0A5828FA FF015018
	v_mov_b32_e32 v45, v44                                     // 000000005568: 7E5A032C
	v_pk_fma_f32 v[68:69], v[116:117], v[44:45], v[68:69]      // 00000000556C: D3B04044 1D125974
	v_pk_fma_f32 v[70:71], v[118:119], v[44:45], v[70:71]      // 000000005574: D3B04046 1D1A5976
	v_pk_fma_f32 v[76:77], v[124:125], v[44:45], v[76:77]      // 00000000557C: D3B0404C 1D32597C
	v_pk_fma_f32 v[78:79], v[126:127], v[44:45], v[78:79]      // 000000005584: D3B0404E 1D3A597E
	s_waitcnt vmcnt(7)                                         // 00000000558C: BF8C0F77
	v_mfma_f32_16x16x128_f8f6f4 v[112:115], a[48:55], v[168:175], 0// 000000005590: D3AD0070 0A035130
	buffer_load_dwordx4 a[16:19], v34, s[24:27], 0 offen offset:2048// 000000005598: E05C1800 80861022
	buffer_load_dwordx4 a[20:23], v34, s[24:27], 0 offen offset:3072// 0000000055A0: E05C1C00 80861422
	v_mfma_f32_16x16x128_f8f6f4 v[116:119], a[48:55], v[184:191], 0// 0000000055A8: D3AD0074 0A037130
	s_waitcnt lgkmcnt(0)                                       // 0000000055B0: BF8CC07F
	s_barrier                                                  // 0000000055B4: BF8A0000
	ds_read_b128 v[128:131], v2                                // 0000000055B8: D9FE0000 80000002
	ds_read_b128 v[132:135], v2 offset:64                      // 0000000055C0: D9FE0040 84000002
	ds_read_b128 v[136:139], v2 offset:4224                    // 0000000055C8: D9FE1080 88000002
	ds_read_b128 v[140:143], v2 offset:4288                    // 0000000055D0: D9FE10C0 8C000002
	ds_read_b32 v15, v3 offset:8448                            // 0000000055D8: D86C2100 0F000003
	ds_read_b32 v16, v3 offset:8704                            // 0000000055E0: D86C2200 10000003
	s_waitcnt vmcnt(7)                                         // 0000000055E8: BF8C0F77
	v_mfma_f32_16x16x128_f8f6f4 v[120:123], a[56:63], v[168:175], 0// 0000000055EC: D3AD0078 0A035138
	buffer_load_dwordx4 a[24:27], v35, s[24:27], 0 offen offset:2048// 0000000055F4: E05C1800 80861823
	buffer_load_dwordx4 a[28:31], v35, s[24:27], 0 offen offset:3072// 0000000055FC: E05C1C00 80861C23
	v_mfma_f32_16x16x128_f8f6f4 v[124:127], a[56:63], v[184:191], 0// 000000005604: D3AD007C 0A037138
	ds_read_b128 v[144:147], v2 offset:512                     // 00000000560C: D9FE0200 90000002
	ds_read_b128 v[148:151], v2 offset:576                     // 000000005614: D9FE0240 94000002
	ds_read_b128 v[152:155], v2 offset:4736                    // 00000000561C: D9FE1280 98000002
	ds_read_b128 v[156:159], v2 offset:4800                    // 000000005624: D9FE12C0 9C000002
	ds_read_b32 v17, v3 offset:8960                            // 00000000562C: D86C2300 11000003
	ds_read_b32 v18, v3 offset:9216                            // 000000005634: D86C2400 12000003
	v_mul_f32_dpp v44, v24, v21 row_newbcast:2 row_mask:0xf bank_mask:0xf// 00000000563C: 0A582AFA FF015218
	v_mov_b32_e32 v45, v44                                     // 000000005644: 7E5A032C
	v_pk_fma_f32 v[64:65], v[112:113], v[44:45], v[64:65]      // 000000005648: D3B04040 1D025970
	v_pk_fma_f32 v[66:67], v[114:115], v[44:45], v[66:67]      // 000000005650: D3B04042 1D0A5972
	v_pk_fma_f32 v[72:73], v[120:121], v[44:45], v[72:73]      // 000000005658: D3B04048 1D225978
	v_pk_fma_f32 v[74:75], v[122:123], v[44:45], v[74:75]      // 000000005660: D3B0404A 1D2A597A
	v_mul_f32_dpp v44, v24, v22 row_newbcast:2 row_mask:0xf bank_mask:0xf// 000000005668: 0A582CFA FF015218
	v_mov_b32_e32 v45, v44                                     // 000000005670: 7E5A032C
	v_pk_fma_f32 v[68:69], v[116:117], v[44:45], v[68:69]      // 000000005674: D3B04044 1D125974
	v_pk_fma_f32 v[70:71], v[118:119], v[44:45], v[70:71]      // 00000000567C: D3B04046 1D1A5976
	v_pk_fma_f32 v[76:77], v[124:125], v[44:45], v[76:77]      // 000000005684: D3B0404C 1D32597C
	v_pk_fma_f32 v[78:79], v[126:127], v[44:45], v[78:79]      // 00000000568C: D3B0404E 1D3A597E
	s_add_u32 s60, 0x200, s80                                  // 000000005694: 803C50FF 00000200
	s_cmp_lt_u32 s60, s81                                      // 00000000569C: BF0A513C
	s_cselect_b32 s57, s57, 0                                  // 0000000056A0: 85398039
	s_cselect_b32 s3, s3, 0                                    // 0000000056A4: 85038003
	s_add_u32 s60, 0x200, s80                                  // 0000000056A8: 803C50FF 00000200
	s_cmp_lt_u32 s60, s81                                      // 0000000056B0: BF0A513C
	s_cselect_b32 s58, s58, 0                                  // 0000000056B4: 853A803A
	s_add_u32 s20, s57, s20                                    // 0000000056B8: 80141439
	s_addc_u32 s21, 0, s21                                     // 0000000056BC: 82151580
	s_add_u32 s28, s3, s28                                     // 0000000056C0: 801C1C03
	s_addc_u32 s29, 0, s29                                     // 0000000056C4: 821D1D80
	s_add_u32 s24, s58, s24                                    // 0000000056C8: 8018183A
	s_addc_u32 s25, 0, s25                                     // 0000000056CC: 82191980
	s_add_u32 s92, s90, s92                                    // 0000000056D0: 805C5C5A
	s_addc_u32 s93, 0, s93                                     // 0000000056D4: 825D5D80
	s_addk_i32 s80, 0x100                                      // 0000000056D8: B7500100
	s_cmp_lt_i32 s80, s81                                      // 0000000056DC: BF045150
	s_cbranch_scc0 label_0A3A                                  // 0000000056E0: BF840001
	s_branch label_0871                                        // 0000000056E4: BF82FE37

00000000000056e8 <label_0A3A>:
	s_mov_b32 s20, 0                                           // 0000000056E8: BE940080
	s_cmp_lt_u32 s89, s66                                      // 0000000056EC: BF0A4259
	s_cselect_b32 s60, 0, 1                                    // 0000000056F0: 853C8180
	s_lshl1_add_u32 s20, s20, s60                              // 0000000056F4: 97143C14
	s_cmp_lt_u32 s88, s66                                      // 0000000056F8: BF0A4258
	s_cselect_b32 s60, 0, 1                                    // 0000000056FC: 853C8180
	s_lshl1_add_u32 s20, s20, s60                              // 000000005700: 97143C14
	s_cmp_lt_u32 s87, s66                                      // 000000005704: BF0A4257
	s_cselect_b32 s60, 0, 1                                    // 000000005708: 853C8180
	s_lshl1_add_u32 s20, s20, s60                              // 00000000570C: 97143C14
	s_cmp_lt_u32 s86, s66                                      // 000000005710: BF0A4256
	s_cselect_b32 s60, 0, 1                                    // 000000005714: 853C8180
	s_lshl1_add_u32 s20, s20, s60                              // 000000005718: 97143C14
	s_cmp_lt_u32 s85, s66                                      // 00000000571C: BF0A4255
	s_cselect_b32 s60, 0, 1                                    // 000000005720: 853C8180
	s_lshl1_add_u32 s20, s20, s60                              // 000000005724: 97143C14
	s_cmp_lt_u32 s84, s66                                      // 000000005728: BF0A4254
	s_cselect_b32 s60, 0, 1                                    // 00000000572C: 853C8180
	s_lshl1_add_u32 s20, s20, s60                              // 000000005730: 97143C14
	s_cmp_lt_u32 s83, s66                                      // 000000005734: BF0A4253
	s_cselect_b32 s60, 0, 1                                    // 000000005738: 853C8180
	s_lshl1_add_u32 s20, s20, s60                              // 00000000573C: 97143C14
	s_cmp_lt_u32 s82, s66                                      // 000000005740: BF0A4252
	s_cselect_b32 s60, 0, 1                                    // 000000005744: 853C8180
	s_lshl1_add_u32 s20, s20, s60                              // 000000005748: 97143C14
	s_waitcnt vmcnt(4)                                         // 00000000574C: BF8C0F74
	buffer_load_dwordx4 a[0:3], v36, s[12:15], 0 offen         // 000000005750: E05C1000 80830024
	v_mul_f32_e64 v44, -v96, s6                                // 000000005758: D105002C 20000D60
	v_mul_f32_e64 v45, -v97, s6                                // 000000005760: D105002D 20000D61
	v_mul_f32_e64 v46, -v98, s6                                // 000000005768: D105002E 20000D62
	v_mul_f32_e64 v47, -v99, s6                                // 000000005770: D105002F 20000D63
	v_exp_f32_e32 v44, v44                                     // 000000005778: 7E58412C
	v_exp_f32_e32 v45, v45                                     // 00000000577C: 7E5A412D
	v_exp_f32_e32 v46, v46                                     // 000000005780: 7E5C412E
	v_exp_f32_e32 v47, v47                                     // 000000005784: 7E5E412F
	buffer_load_dwordx4 a[4:7], v36, s[12:15], 0 offen offset:1024// 000000005788: E05C1400 80830424
	v_add_f32_e64 v44, v44, 1.0                                // 000000005790: D101002C 0001E52C
	v_add_f32_e64 v45, v45, 1.0                                // 000000005798: D101002D 0001E52D
	v_add_f32_e64 v46, v46, 1.0                                // 0000000057A0: D101002E 0001E52E
	v_add_f32_e64 v47, v47, 1.0                                // 0000000057A8: D101002F 0001E52F
	v_rcp_f32_e32 v44, v44                                     // 0000000057B0: 7E58452C
	v_rcp_f32_e32 v45, v45                                     // 0000000057B4: 7E5A452D
	v_rcp_f32_e32 v46, v46                                     // 0000000057B8: 7E5C452E
	v_rcp_f32_e32 v47, v47                                     // 0000000057BC: 7E5E452F
	v_mul_f32_e32 v96, v96, v44                                // 0000000057C0: 0AC05960
	v_mul_f32_e32 v97, v97, v45                                // 0000000057C4: 0AC25B61
	v_mul_f32_e32 v98, v98, v46                                // 0000000057C8: 0AC45D62
	v_mul_f32_e32 v99, v99, v47                                // 0000000057CC: 0AC65F63
	v_mul_f32_e32 v96, v96, v64                                // 0000000057D0: 0AC08160
	v_mul_f32_e32 v97, v97, v65                                // 0000000057D4: 0AC28361
	v_mul_f32_e32 v98, v98, v66                                // 0000000057D8: 0AC48562
	v_mul_f32_e32 v99, v99, v67                                // 0000000057DC: 0AC68763
	buffer_load_dwordx4 a[8:11], v37, s[12:15], 0 offen        // 0000000057E0: E05C1000 80830825
	v_mul_f32_e64 v44, -v100, s6                               // 0000000057E8: D105002C 20000D64
	v_mul_f32_e64 v45, -v101, s6                               // 0000000057F0: D105002D 20000D65
	v_mul_f32_e64 v46, -v102, s6                               // 0000000057F8: D105002E 20000D66
	v_mul_f32_e64 v47, -v103, s6                               // 000000005800: D105002F 20000D67
	v_exp_f32_e32 v44, v44                                     // 000000005808: 7E58412C
	v_exp_f32_e32 v45, v45                                     // 00000000580C: 7E5A412D
	v_exp_f32_e32 v46, v46                                     // 000000005810: 7E5C412E
	v_exp_f32_e32 v47, v47                                     // 000000005814: 7E5E412F
	buffer_load_dwordx4 a[12:15], v37, s[12:15], 0 offen offset:1024// 000000005818: E05C1400 80830C25
	v_add_f32_e64 v44, v44, 1.0                                // 000000005820: D101002C 0001E52C
	v_add_f32_e64 v45, v45, 1.0                                // 000000005828: D101002D 0001E52D
	v_add_f32_e64 v46, v46, 1.0                                // 000000005830: D101002E 0001E52E
	v_add_f32_e64 v47, v47, 1.0                                // 000000005838: D101002F 0001E52F
	v_rcp_f32_e32 v44, v44                                     // 000000005840: 7E58452C
	v_rcp_f32_e32 v45, v45                                     // 000000005844: 7E5A452D
	v_rcp_f32_e32 v46, v46                                     // 000000005848: 7E5C452E
	v_rcp_f32_e32 v47, v47                                     // 00000000584C: 7E5E452F
	v_mul_f32_e32 v100, v100, v44                              // 000000005850: 0AC85964
	v_mul_f32_e32 v101, v101, v45                              // 000000005854: 0ACA5B65
	v_mul_f32_e32 v102, v102, v46                              // 000000005858: 0ACC5D66
	v_mul_f32_e32 v103, v103, v47                              // 00000000585C: 0ACE5F67
	v_mul_f32_e32 v100, v100, v68                              // 000000005860: 0AC88964
	v_mul_f32_e32 v101, v101, v69                              // 000000005864: 0ACA8B65
	v_mul_f32_e32 v102, v102, v70                              // 000000005868: 0ACC8D66
	v_mul_f32_e32 v103, v103, v71                              // 00000000586C: 0ACE8F67
	s_waitcnt vmcnt(4)                                         // 000000005870: BF8C0F74
	buffer_load_dwordx4 a[16:19], v38, s[12:15], 0 offen       // 000000005874: E05C1000 80831026
	v_mul_f32_e64 v44, -v104, s6                               // 00000000587C: D105002C 20000D68
	v_mul_f32_e64 v45, -v105, s6                               // 000000005884: D105002D 20000D69
	v_mul_f32_e64 v46, -v106, s6                               // 00000000588C: D105002E 20000D6A
	v_mul_f32_e64 v47, -v107, s6                               // 000000005894: D105002F 20000D6B
	v_exp_f32_e32 v44, v44                                     // 00000000589C: 7E58412C
	v_exp_f32_e32 v45, v45                                     // 0000000058A0: 7E5A412D
	v_exp_f32_e32 v46, v46                                     // 0000000058A4: 7E5C412E
	v_exp_f32_e32 v47, v47                                     // 0000000058A8: 7E5E412F
	buffer_load_dwordx4 a[20:23], v38, s[12:15], 0 offen offset:1024// 0000000058AC: E05C1400 80831426
	v_add_f32_e64 v44, v44, 1.0                                // 0000000058B4: D101002C 0001E52C
	v_add_f32_e64 v45, v45, 1.0                                // 0000000058BC: D101002D 0001E52D
	v_add_f32_e64 v46, v46, 1.0                                // 0000000058C4: D101002E 0001E52E
	v_add_f32_e64 v47, v47, 1.0                                // 0000000058CC: D101002F 0001E52F
	v_rcp_f32_e32 v44, v44                                     // 0000000058D4: 7E58452C
	v_rcp_f32_e32 v45, v45                                     // 0000000058D8: 7E5A452D
	v_rcp_f32_e32 v46, v46                                     // 0000000058DC: 7E5C452E
	v_rcp_f32_e32 v47, v47                                     // 0000000058E0: 7E5E452F
	v_mul_f32_e32 v104, v104, v44                              // 0000000058E4: 0AD05968
	v_mul_f32_e32 v105, v105, v45                              // 0000000058E8: 0AD25B69
	v_mul_f32_e32 v106, v106, v46                              // 0000000058EC: 0AD45D6A
	v_mul_f32_e32 v107, v107, v47                              // 0000000058F0: 0AD65F6B
	v_mul_f32_e32 v104, v104, v72                              // 0000000058F4: 0AD09168
	v_mul_f32_e32 v105, v105, v73                              // 0000000058F8: 0AD29369
	v_mul_f32_e32 v106, v106, v74                              // 0000000058FC: 0AD4956A
	v_mul_f32_e32 v107, v107, v75                              // 000000005900: 0AD6976B
	buffer_load_dwordx4 a[24:27], v39, s[12:15], 0 offen       // 000000005904: E05C1000 80831827
	v_mul_f32_e64 v44, -v108, s6                               // 00000000590C: D105002C 20000D6C
	v_mul_f32_e64 v45, -v109, s6                               // 000000005914: D105002D 20000D6D
	v_mul_f32_e64 v46, -v110, s6                               // 00000000591C: D105002E 20000D6E
	v_mul_f32_e64 v47, -v111, s6                               // 000000005924: D105002F 20000D6F
	v_exp_f32_e32 v44, v44                                     // 00000000592C: 7E58412C
	v_exp_f32_e32 v45, v45                                     // 000000005930: 7E5A412D
	v_exp_f32_e32 v46, v46                                     // 000000005934: 7E5C412E
	v_exp_f32_e32 v47, v47                                     // 000000005938: 7E5E412F
	buffer_load_dwordx4 a[28:31], v39, s[12:15], 0 offen offset:1024// 00000000593C: E05C1400 80831C27
	v_add_f32_e64 v44, v44, 1.0                                // 000000005944: D101002C 0001E52C
	v_add_f32_e64 v45, v45, 1.0                                // 00000000594C: D101002D 0001E52D
	v_add_f32_e64 v46, v46, 1.0                                // 000000005954: D101002E 0001E52E
	v_add_f32_e64 v47, v47, 1.0                                // 00000000595C: D101002F 0001E52F
	v_rcp_f32_e32 v44, v44                                     // 000000005964: 7E58452C
	v_rcp_f32_e32 v45, v45                                     // 000000005968: 7E5A452D
	v_rcp_f32_e32 v46, v46                                     // 00000000596C: 7E5C452E
	v_rcp_f32_e32 v47, v47                                     // 000000005970: 7E5E452F
	v_mul_f32_e32 v108, v108, v44                              // 000000005974: 0AD8596C
	v_mul_f32_e32 v109, v109, v45                              // 000000005978: 0ADA5B6D
	v_mul_f32_e32 v110, v110, v46                              // 00000000597C: 0ADC5D6E
	v_mul_f32_e32 v111, v111, v47                              // 000000005980: 0ADE5F6F
	v_mul_f32_e32 v108, v108, v76                              // 000000005984: 0AD8996C
	v_mul_f32_e32 v109, v109, v77                              // 000000005988: 0ADA9B6D
	v_mul_f32_e32 v110, v110, v78                              // 00000000598C: 0ADC9D6E
	v_mul_f32_e32 v111, v111, v79                              // 000000005990: 0ADE9F6F
	v_lshlrev_b32_e32 v44, 2, v0                               // 000000005994: 24580082
	s_mul_i32 s60, s82, s71                                    // 000000005998: 923C4752
	v_add_u32_e64 v80, v44, s60                                // 00000000599C: D1340050 0000792C
	v_mov_b32_e32 v81, 0                                       // 0000000059A4: 7EA20280
	s_mul_i32 s60, s83, s71                                    // 0000000059A8: 923C4753
	v_add_u32_e64 v82, v44, s60                                // 0000000059AC: D1340052 0000792C
	v_mov_b32_e32 v83, 0                                       // 0000000059B4: 7EA60280
	s_mul_i32 s60, s84, s71                                    // 0000000059B8: 923C4754
	v_add_u32_e64 v84, v44, s60                                // 0000000059BC: D1340054 0000792C
	v_mov_b32_e32 v85, 0                                       // 0000000059C4: 7EAA0280
	s_mul_i32 s60, s85, s71                                    // 0000000059C8: 923C4755
	v_add_u32_e64 v86, v44, s60                                // 0000000059CC: D1340056 0000792C
	v_mov_b32_e32 v87, 0                                       // 0000000059D4: 7EAE0280
	s_mul_i32 s60, s86, s71                                    // 0000000059D8: 923C4756
	v_add_u32_e64 v88, v44, s60                                // 0000000059DC: D1340058 0000792C
	v_mov_b32_e32 v89, 0                                       // 0000000059E4: 7EB20280
	s_mul_i32 s60, s87, s71                                    // 0000000059E8: 923C4757
	v_add_u32_e64 v90, v44, s60                                // 0000000059EC: D134005A 0000792C
	v_mov_b32_e32 v91, 0                                       // 0000000059F4: 7EB60280
	s_mul_i32 s60, s88, s71                                    // 0000000059F8: 923C4758
	v_add_u32_e64 v92, v44, s60                                // 0000000059FC: D134005C 0000792C
	v_mov_b32_e32 v93, 0                                       // 000000005A04: 7EBA0280
	s_mul_i32 s60, s89, s71                                    // 000000005A08: 923C4759
	v_add_u32_e64 v94, v44, s60                                // 000000005A0C: D134005E 0000792C
	v_mov_b32_e32 v95, 0                                       // 000000005A14: 7EBE0280
	buffer_load_dword v23, v6, s[16:19], 0 offen               // 000000005A18: E0501000 80041706
	v_mov_b32_e32 v28, 0x358637bd                              // 000000005A20: 7E3802FF 358637BD
	v_mov_b32_e32 v29, 0x358637bd                              // 000000005A28: 7E3A02FF 358637BD
	v_max3_f32 v28, |v96|, |v97|, v28                          // 000000005A30: D1D3031C 0472C360
	v_max3_f32 v28, |v98|, |v99|, v28                          // 000000005A38: D1D3031C 0472C762
	v_max3_f32 v29, |v100|, |v101|, v29                        // 000000005A40: D1D3031D 0476CB64
	v_max3_f32 v29, |v102|, |v103|, v29                        // 000000005A48: D1D3031D 0476CF66
	v_max3_f32 v28, |v104|, |v105|, v28                        // 000000005A50: D1D3031C 0472D368
	v_max3_f32 v28, |v106|, |v107|, v28                        // 000000005A58: D1D3031C 0472D76A
	v_max3_f32 v29, |v108|, |v109|, v29                        // 000000005A60: D1D3031D 0476DB6C
	v_max3_f32 v29, |v110|, |v111|, v29                        // 000000005A68: D1D3031D 0476DF6E
	v_mov_b32_e32 v44, v28                                     // 000000005A70: 7E58031C
	s_nop 1                                                    // 000000005A74: BF800001
	v_permlane32_swap_b32_e32 v44, v28                         // 000000005A78: 7E58B51C
	v_max_f32_e32 v28, v44, v28                                // 000000005A7C: 1638392C
	v_mov_b32_e32 v44, v28                                     // 000000005A80: 7E58031C
	s_nop 1                                                    // 000000005A84: BF800001
	v_permlane16_swap_b32_e32 v44, v28                         // 000000005A88: 7E58B31C
	v_max_f32_e32 v28, v44, v28                                // 000000005A8C: 1638392C
	v_mov_b32_e32 v44, v29                                     // 000000005A90: 7E58031D
	s_nop 1                                                    // 000000005A94: BF800001
	v_permlane32_swap_b32_e32 v44, v29                         // 000000005A98: 7E58B51D
	v_max_f32_e32 v29, v44, v29                                // 000000005A9C: 163A3B2C
	v_mov_b32_e32 v44, v29                                     // 000000005AA0: 7E58031D
	s_nop 1                                                    // 000000005AA4: BF800001
	v_permlane16_swap_b32_e32 v44, v29                         // 000000005AA8: 7E58B31D
	v_max_f32_e32 v29, v44, v29                                // 000000005AAC: 163A3B2C
	v_lshlrev_b32_e32 v44, 2, v0                               // 000000005AB0: 24580082
	s_mul_i32 s60, 64, s7                                      // 000000005AB4: 923C07C0
	v_add_u32_e32 v44, s60, v44                                // 000000005AB8: 6858583C
	s_mov_b32 s60, 0xffff                                      // 000000005ABC: BEBC00FF 0000FFFF
	s_mov_b32 s61, 0                                           // 000000005AC4: BEBD0080
	s_mov_b64 exec, s[60:61]                                   // 000000005AC8: BEFE013C
	ds_write_b32 v44, v28 offset:18944                         // 000000005ACC: D81A4A00 00001C2C
	ds_write_b32 v44, v29 offset:19200                         // 000000005AD4: D81A4B00 00001D2C
	s_mov_b32 s60, -1                                          // 000000005ADC: BEBC00C1
	s_mov_b32 s61, -1                                          // 000000005AE0: BEBD00C1
	s_mov_b64 exec, s[60:61]                                   // 000000005AE4: BEFE013C
	s_waitcnt lgkmcnt(0)                                       // 000000005AE8: BF8CC07F
	s_barrier                                                  // 000000005AEC: BF8A0000
	v_lshlrev_b32_e32 v44, 2, v0                               // 000000005AF0: 24580082
	ds_read_b32 v112, v44 offset:18944                         // 000000005AF4: D86C4A00 7000002C
	ds_read_b32 v113, v44 offset:19200                         // 000000005AFC: D86C4B00 7100002C
	s_waitcnt lgkmcnt(0)                                       // 000000005B04: BF8CC07F
	v_mov_b32_e32 v44, v112                                    // 000000005B08: 7E580370
	s_nop 1                                                    // 000000005B0C: BF800001
	v_permlane32_swap_b32_e32 v44, v112                        // 000000005B10: 7E58B570
	v_max_f32_e32 v112, v44, v112                              // 000000005B14: 16E0E12C
	v_mov_b32_e32 v44, v112                                    // 000000005B18: 7E580370
	s_nop 1                                                    // 000000005B1C: BF800001
	v_permlane16_swap_b32_e32 v44, v112                        // 000000005B20: 7E58B370
	v_max_f32_e32 v112, v44, v112                              // 000000005B24: 16E0E12C
	v_mov_b32_e32 v44, v113                                    // 000000005B28: 7E580371
	s_nop 1                                                    // 000000005B2C: BF800001
	v_permlane32_swap_b32_e32 v44, v113                        // 000000005B30: 7E58B571
	v_max_f32_e32 v113, v44, v113                              // 000000005B34: 16E2E32C
	v_mov_b32_e32 v44, v113                                    // 000000005B38: 7E580371
	s_nop 1                                                    // 000000005B3C: BF800001
	v_permlane16_swap_b32_e32 v44, v113                        // 000000005B40: 7E58B371
	v_max_f32_e32 v113, v44, v113                              // 000000005B44: 16E2E32C
	v_max_f32_e32 v28, v112, v28                               // 000000005B48: 16383970
	v_max_f32_e32 v29, v113, v29                               // 000000005B4C: 163A3B71
	v_rcp_f32_e32 v28, v28                                     // 000000005B50: 7E38451C
	v_rcp_f32_e32 v29, v29                                     // 000000005B54: 7E3A451D
	v_mov_b32_e32 v44, 0x43e00000                              // 000000005B58: 7E5802FF 43E00000
	v_mul_f32_e32 v28, v44, v28                                // 000000005B60: 0A38392C
	v_mul_f32_e32 v29, v44, v29                                // 000000005B64: 0A3A3B2C
	v_mul_f32_e32 v96, v28, v96                                // 000000005B68: 0AC0C11C
	v_mul_f32_e32 v97, v28, v97                                // 000000005B6C: 0AC2C31C
	v_mul_f32_e32 v98, v28, v98                                // 000000005B70: 0AC4C51C
	v_mul_f32_e32 v99, v28, v99                                // 000000005B74: 0AC6C71C
	v_cvt_pk_fp8_f32 v96, v96, v97                             // 000000005B78: D2A20060 0002C360
	v_cvt_pk_fp8_f32 v96, v98, v99 op_sel:[0,0,1]              // 000000005B80: D2A24060 0002C762
	v_mul_f32_e32 v100, v29, v100                              // 000000005B88: 0AC8C91D
	v_mul_f32_e32 v101, v29, v101                              // 000000005B8C: 0ACACB1D
	v_mul_f32_e32 v102, v29, v102                              // 000000005B90: 0ACCCD1D
	v_mul_f32_e32 v103, v29, v103                              // 000000005B94: 0ACECF1D
	v_cvt_pk_fp8_f32 v97, v100, v101                           // 000000005B98: D2A20061 0002CB64
	v_cvt_pk_fp8_f32 v97, v102, v103 op_sel:[0,0,1]            // 000000005BA0: D2A24061 0002CF66
	v_mul_f32_e32 v104, v28, v104                              // 000000005BA8: 0AD0D11C
	v_mul_f32_e32 v105, v28, v105                              // 000000005BAC: 0AD2D31C
	v_mul_f32_e32 v106, v28, v106                              // 000000005BB0: 0AD4D51C
	v_mul_f32_e32 v107, v28, v107                              // 000000005BB4: 0AD6D71C
	v_cvt_pk_fp8_f32 v98, v104, v105                           // 000000005BB8: D2A20062 0002D368
	v_cvt_pk_fp8_f32 v98, v106, v107 op_sel:[0,0,1]            // 000000005BC0: D2A24062 0002D76A
	v_mul_f32_e32 v108, v29, v108                              // 000000005BC8: 0AD8D91D
	v_mul_f32_e32 v109, v29, v109                              // 000000005BCC: 0ADADB1D
	v_mul_f32_e32 v110, v29, v110                              // 000000005BD0: 0ADCDD1D
	v_mul_f32_e32 v111, v29, v111                              // 000000005BD4: 0ADEDF1D
	v_cvt_pk_fp8_f32 v99, v108, v109                           // 000000005BD8: D2A20063 0002DB6C
	v_cvt_pk_fp8_f32 v99, v110, v111 op_sel:[0,0,1]            // 000000005BE0: D2A24063 0002DF6E
	v_rcp_f32_e32 v30, v28                                     // 000000005BE8: 7E3C451C
	v_rcp_f32_e32 v31, v29                                     // 000000005BEC: 7E3E451D
	v_lshrrev_b32_e32 v44, 5, v0                               // 000000005BF0: 20580085
	v_lshlrev_b32_e32 v45, 6, v44                              // 000000005BF4: 245A5886
	v_and_b32_e32 v44, 31, v0                                  // 000000005BF8: 2658009F
	v_lshrrev_b32_e32 v46, 4, v44                              // 000000005BFC: 205C5884
	v_add_u32_e32 v45, v46, v45                                // 000000005C00: 685A5B2E
	v_and_b32_e32 v44, 15, v0                                  // 000000005C04: 2658008F
	v_lshlrev_b32_e32 v44, 1, v44                              // 000000005C08: 24585881
	v_add_u32_e32 v45, v44, v45                                // 000000005C0C: 685A5B2C
	v_lshlrev_b32_e32 v44, 2, v45                              // 000000005C10: 24585A82
	s_mov_b32 s60, 0                                           // 000000005C14: BEBC0080
	s_lshr_b32 s61, s7, 1                                      // 000000005C18: 8F3D8107
	s_mul_i32 s61, s61, 0x200                                  // 000000005C1C: 923DFF3D 00000200
	s_add_u32 s60, s61, s60                                    // 000000005C24: 803C3C3D
	s_and_b32 s61, s7, 1                                       // 000000005C28: 863D8107
	s_mul_i32 s61, s61, 0x80                                   // 000000005C2C: 923DFF3D 00000080
	s_add_u32 s60, s61, s60                                    // 000000005C34: 803C3C3D
	v_add_u32_e64 v44, v44, s60                                // 000000005C38: D134002C 0000792C
	ds_write_b32 v44, v96 offset:20992                         // 000000005C40: D81A5200 0000602C
	ds_write_b32 v44, v97 offset:23040                         // 000000005C48: D81A5A00 0000612C
	ds_write_b32 v44, v98 offset:22016                         // 000000005C50: D81A5600 0000622C
	ds_write_b32 v44, v99 offset:24064                         // 000000005C58: D81A5E00 0000632C
	s_waitcnt lgkmcnt(0)                                       // 000000005C60: BF8CC07F
	s_barrier                                                  // 000000005C64: BF8A0000
	v_and_b32_e32 v44, 31, v0                                  // 000000005C68: 2658009F
	v_lshrrev_b32_e32 v44, 4, v44                              // 000000005C6C: 20585884
	v_lshlrev_b32_e32 v45, 5, v44                              // 000000005C70: 245A5885
	v_lshrrev_b32_e32 v44, 5, v0                               // 000000005C74: 20580085
	v_lshlrev_b32_e32 v44, 7, v44                              // 000000005C78: 24585887
	v_add_u32_e32 v45, v44, v45                                // 000000005C7C: 685A5B2C
	v_and_b32_e32 v44, 15, v0                                  // 000000005C80: 2658008F
	v_lshlrev_b32_e32 v44, 1, v44                              // 000000005C84: 24585881
	v_add_u32_e32 v45, v44, v45                                // 000000005C88: 685A5B2C
	v_lshlrev_b32_e32 v44, 2, v45                              // 000000005C8C: 24585A82
	ds_read_b64 v[96:97], v44 offset:20992                     // 000000005C90: D8EC5200 6000002C
	ds_read_b64 v[98:99], v44 offset:21248                     // 000000005C98: D8EC5300 6200002C
	ds_read_b64 v[100:101], v44 offset:22016                   // 000000005CA0: D8EC5600 6400002C
	ds_read_b64 v[102:103], v44 offset:22272                   // 000000005CA8: D8EC5700 6600002C
	ds_read_b64 v[104:105], v44 offset:23040                   // 000000005CB0: D8EC5A00 6800002C
	ds_read_b64 v[106:107], v44 offset:23296                   // 000000005CB8: D8EC5B00 6A00002C
	ds_read_b64 v[108:109], v44 offset:24064                   // 000000005CC0: D8EC5E00 6C00002C
	ds_read_b64 v[110:111], v44 offset:24320                   // 000000005CC8: D8EC5F00 6E00002C
	s_add_u32 s12, s56, s12                                    // 000000005CD0: 800C0C38
	s_addc_u32 s13, 0, s13                                     // 000000005CD4: 820D0D80
	s_add_u32 s16, s79, s16                                    // 000000005CD8: 8010104F
	s_addc_u32 s17, 0, s17                                     // 000000005CDC: 82111180
	s_waitcnt lgkmcnt(0)                                       // 000000005CE0: BF8CC07F
	s_barrier                                                  // 000000005CE4: BF8A0000
	v_mov_b32_e32 v128, 0                                      // 000000005CE8: 7F000280
	v_mov_b32_e32 v160, 0                                      // 000000005CEC: 7F400280
	v_mov_b32_e32 v129, 0                                      // 000000005CF0: 7F020280
	v_mov_b32_e32 v161, 0                                      // 000000005CF4: 7F420280
	v_mov_b32_e32 v130, 0                                      // 000000005CF8: 7F040280
	v_mov_b32_e32 v162, 0                                      // 000000005CFC: 7F440280
	v_mov_b32_e32 v131, 0                                      // 000000005D00: 7F060280
	v_mov_b32_e32 v163, 0                                      // 000000005D04: 7F460280
	v_mov_b32_e32 v132, 0                                      // 000000005D08: 7F080280
	v_mov_b32_e32 v164, 0                                      // 000000005D0C: 7F480280
	v_mov_b32_e32 v133, 0                                      // 000000005D10: 7F0A0280
	v_mov_b32_e32 v165, 0                                      // 000000005D14: 7F4A0280
	v_mov_b32_e32 v134, 0                                      // 000000005D18: 7F0C0280
	v_mov_b32_e32 v166, 0                                      // 000000005D1C: 7F4C0280
	v_mov_b32_e32 v135, 0                                      // 000000005D20: 7F0E0280
	v_mov_b32_e32 v167, 0                                      // 000000005D24: 7F4E0280
	v_mov_b32_e32 v136, 0                                      // 000000005D28: 7F100280
	v_mov_b32_e32 v168, 0                                      // 000000005D2C: 7F500280
	v_mov_b32_e32 v137, 0                                      // 000000005D30: 7F120280
	v_mov_b32_e32 v169, 0                                      // 000000005D34: 7F520280
	v_mov_b32_e32 v138, 0                                      // 000000005D38: 7F140280
	v_mov_b32_e32 v170, 0                                      // 000000005D3C: 7F540280
	v_mov_b32_e32 v139, 0                                      // 000000005D40: 7F160280
	v_mov_b32_e32 v171, 0                                      // 000000005D44: 7F560280
	v_mov_b32_e32 v140, 0                                      // 000000005D48: 7F180280
	v_mov_b32_e32 v172, 0                                      // 000000005D4C: 7F580280
	v_mov_b32_e32 v141, 0                                      // 000000005D50: 7F1A0280
	v_mov_b32_e32 v173, 0                                      // 000000005D54: 7F5A0280
	v_mov_b32_e32 v142, 0                                      // 000000005D58: 7F1C0280
	v_mov_b32_e32 v174, 0                                      // 000000005D5C: 7F5C0280
	v_mov_b32_e32 v143, 0                                      // 000000005D60: 7F1E0280
	v_mov_b32_e32 v175, 0                                      // 000000005D64: 7F5E0280
	ds_write_b64 v4, v[128:129] offset:20992                   // 000000005D68: D89A5200 00008004
	ds_write_b64 v4, v[130:131] offset:29696                   // 000000005D70: D89A7400 00008204
	ds_write_b64 v4, v[132:133] offset:23168                   // 000000005D78: D89A5A80 00008404
	ds_write_b64 v4, v[134:135] offset:31872                   // 000000005D80: D89A7C80 00008604
	ds_write_b64 v4, v[136:137] offset:25344                   // 000000005D88: D89A6300 00008804
	ds_write_b64 v4, v[138:139] offset:34048                   // 000000005D90: D89A8500 00008A04
	ds_write_b64 v4, v[140:141] offset:27520                   // 000000005D98: D89A6B80 00008C04
	ds_write_b64 v4, v[142:143] offset:36224                   // 000000005DA0: D89A8D80 00008E04
	s_mov_b32 s80, 0                                           // 000000005DA8: BED00080
	s_waitcnt vmcnt(0) expcnt(0) lgkmcnt(0)                    // 000000005DAC: BF8C0000

0000000000005db0 <label_0BEC>:
	s_waitcnt vmcnt(4) lgkmcnt(0)                              // 000000005DB0: BF8C0074
	s_barrier                                                  // 000000005DB4: BF8A0000
	v_mfma_f32_16x16x128_f8f6f4 v[128:131], a[0:7], v[96:103], 0// 000000005DB8: D3AD0080 0A02C100
	buffer_load_dwordx4 a[32:35], v36, s[12:15], 0 offen       // 000000005DC0: E05C1000 80832024
	buffer_load_dwordx4 a[36:39], v36, s[12:15], 0 offen offset:1024// 000000005DC8: E05C1400 80832424
	v_mfma_f32_16x16x128_f8f6f4 v[132:135], a[0:7], v[104:111], 0// 000000005DD0: D3AD0084 0A02D100
	ds_read_b32 v64, v5 offset:20992                           // 000000005DD8: D86C5200 40000005
	ds_read_b32 v65, v5 offset:25344                           // 000000005DE0: D86C6300 41000005
	ds_read_b32 v66, v5 offset:21000                           // 000000005DE8: D86C5208 42000005
	ds_read_b32 v67, v5 offset:25352                           // 000000005DF0: D86C6308 43000005
	v_mfma_f32_16x16x128_f8f6f4 v[136:139], a[8:15], v[96:103], 0// 000000005DF8: D3AD0088 0A02C108
	buffer_load_dwordx4 a[40:43], v37, s[12:15], 0 offen       // 000000005E00: E05C1000 80832825
	buffer_load_dwordx4 a[44:47], v37, s[12:15], 0 offen offset:1024// 000000005E08: E05C1400 80832C25
	buffer_load_dword v24, v6, s[16:19], 0 offen               // 000000005E10: E0501000 80041806
	v_mfma_f32_16x16x128_f8f6f4 v[140:143], a[8:15], v[104:111], 0// 000000005E18: D3AD008C 0A02D108
	ds_read_b32 v68, v5 offset:21024                           // 000000005E20: D86C5220 44000005
	ds_read_b32 v69, v5 offset:25376                           // 000000005E28: D86C6320 45000005
	ds_read_b32 v70, v5 offset:21032                           // 000000005E30: D86C5228 46000005
	ds_read_b32 v71, v5 offset:25384                           // 000000005E38: D86C6328 47000005
	s_waitcnt vmcnt(5)                                         // 000000005E40: BF8C0F75
	v_mfma_f32_16x16x128_f8f6f4 v[144:147], a[16:23], v[96:103], 0// 000000005E44: D3AD0090 0A02C110
	buffer_load_dwordx4 a[48:51], v38, s[12:15], 0 offen       // 000000005E4C: E05C1000 80833026
	buffer_load_dwordx4 a[52:55], v38, s[12:15], 0 offen offset:1024// 000000005E54: E05C1400 80833426
	v_mfma_f32_16x16x128_f8f6f4 v[148:151], a[16:23], v[104:111], 0// 000000005E5C: D3AD0094 0A02D110
	ds_read_b32 v72, v5 offset:29696                           // 000000005E64: D86C7400 48000005
	ds_read_b32 v73, v5 offset:34048                           // 000000005E6C: D86C8500 49000005
	ds_read_b32 v74, v5 offset:29704                           // 000000005E74: D86C7408 4A000005
	ds_read_b32 v75, v5 offset:34056                           // 000000005E7C: D86C8508 4B000005
	ds_write_b64 v4, v[160:161] offset:38400                   // 000000005E84: D89A9600 0000A004
	ds_write_b64 v4, v[162:163] offset:47104                   // 000000005E8C: D89AB800 0000A204
	ds_write_b64 v4, v[164:165] offset:40576                   // 000000005E94: D89A9E80 0000A404
	ds_write_b64 v4, v[166:167] offset:49280                   // 000000005E9C: D89AC080 0000A604
	v_mfma_f32_16x16x128_f8f6f4 v[152:155], a[24:31], v[96:103], 0// 000000005EA4: D3AD0098 0A02C118
	buffer_load_dwordx4 a[56:59], v39, s[12:15], 0 offen       // 000000005EAC: E05C1000 80833827
	buffer_load_dwordx4 a[60:63], v39, s[12:15], 0 offen offset:1024// 000000005EB4: E05C1400 80833C27
	v_mfma_f32_16x16x128_f8f6f4 v[156:159], a[24:31], v[104:111], 0// 000000005EBC: D3AD009C 0A02D118
	ds_read_b32 v76, v5 offset:29728                           // 000000005EC4: D86C7420 4C000005
	ds_read_b32 v77, v5 offset:34080                           // 000000005ECC: D86C8520 4D000005
	ds_read_b32 v78, v5 offset:29736                           // 000000005ED4: D86C7428 4E000005
	ds_read_b32 v79, v5 offset:34088                           // 000000005EDC: D86C8528 4F000005
	ds_write_b64 v4, v[168:169] offset:42752                   // 000000005EE4: D89AA700 0000A804
	ds_write_b64 v4, v[170:171] offset:51456                   // 000000005EEC: D89AC900 0000AA04
	ds_write_b64 v4, v[172:173] offset:44928                   // 000000005EF4: D89AAF80 0000AC04
	ds_write_b64 v4, v[174:175] offset:53632                   // 000000005EFC: D89AD180 0000AE04
	v_mul_f32_dpp v44, v23, v30 row_newbcast:0 row_mask:0xf bank_mask:0xf// 000000005F04: 0A583CFA FF015017
	v_mov_b32_e32 v45, v44                                     // 000000005F0C: 7E5A032C
	v_pk_mul_f32 v[128:129], v[44:45], v[128:129]              // 000000005F10: D3B14080 1803012C
	v_pk_mul_f32 v[130:131], v[44:45], v[130:131]              // 000000005F18: D3B14082 1803052C
	v_pk_mul_f32 v[136:137], v[44:45], v[136:137]              // 000000005F20: D3B14088 1803112C
	v_pk_mul_f32 v[138:139], v[44:45], v[138:139]              // 000000005F28: D3B1408A 1803152C
	v_mul_f32_dpp v44, v23, v30 row_newbcast:1 row_mask:0xf bank_mask:0xf// 000000005F30: 0A583CFA FF015117
	v_mov_b32_e32 v45, v44                                     // 000000005F38: 7E5A032C
	v_pk_mul_f32 v[144:145], v[44:45], v[144:145]              // 000000005F3C: D3B14090 1803212C
	v_pk_mul_f32 v[146:147], v[44:45], v[146:147]              // 000000005F44: D3B14092 1803252C
	v_pk_mul_f32 v[152:153], v[44:45], v[152:153]              // 000000005F4C: D3B14098 1803312C
	v_pk_mul_f32 v[154:155], v[44:45], v[154:155]              // 000000005F54: D3B1409A 1803352C
	v_mul_f32_dpp v44, v23, v31 row_newbcast:0 row_mask:0xf bank_mask:0xf// 000000005F5C: 0A583EFA FF015017
	v_mov_b32_e32 v45, v44                                     // 000000005F64: 7E5A032C
	v_pk_mul_f32 v[132:133], v[44:45], v[132:133]              // 000000005F68: D3B14084 1803092C
	v_pk_mul_f32 v[134:135], v[44:45], v[134:135]              // 000000005F70: D3B14086 18030D2C
	v_pk_mul_f32 v[140:141], v[44:45], v[140:141]              // 000000005F78: D3B1408C 1803192C
	v_pk_mul_f32 v[142:143], v[44:45], v[142:143]              // 000000005F80: D3B1408E 18031D2C
	v_mul_f32_dpp v44, v23, v31 row_newbcast:1 row_mask:0xf bank_mask:0xf// 000000005F88: 0A583EFA FF015117
	v_mov_b32_e32 v45, v44                                     // 000000005F90: 7E5A032C
	v_pk_mul_f32 v[148:149], v[44:45], v[148:149]              // 000000005F94: D3B14094 1803292C
	v_pk_mul_f32 v[150:151], v[44:45], v[150:151]              // 000000005F9C: D3B14096 18032D2C
	v_pk_mul_f32 v[156:157], v[44:45], v[156:157]              // 000000005FA4: D3B1409C 1803392C
	v_pk_mul_f32 v[158:159], v[44:45], v[158:159]              // 000000005FAC: D3B1409E 18033D2C
	s_add_u32 s60, 0x200, s80                                  // 000000005FB4: 803C50FF 00000200
	s_cmp_lt_u32 s60, s81                                      // 000000005FBC: BF0A513C
	s_cselect_b32 s56, s56, 0                                  // 000000005FC0: 85388038
	s_cselect_b32 s78, s78, 0                                  // 000000005FC4: 854E804E
	s_cselect_b32 s79, s79, 0                                  // 000000005FC8: 854F804F
	s_add_u32 s12, s56, s12                                    // 000000005FCC: 800C0C38
	s_addc_u32 s13, 0, s13                                     // 000000005FD0: 820D0D80
	s_add_u32 s16, s79, s16                                    // 000000005FD4: 8010104F
	s_addc_u32 s17, 0, s17                                     // 000000005FD8: 82111180
	v_mov_b32_e32 v44, v25                                     // 000000005FDC: 7E580319
	v_mov_b32_e32 v45, v25                                     // 000000005FE0: 7E5A0319
	v_pk_mul_f32 v[128:129], v[44:45], v[128:129]              // 000000005FE4: D3B14080 1803012C
	v_pk_mul_f32 v[130:131], v[44:45], v[130:131]              // 000000005FEC: D3B14082 1803052C
	v_pk_mul_f32 v[136:137], v[44:45], v[136:137]              // 000000005FF4: D3B14088 1803112C
	v_pk_mul_f32 v[138:139], v[44:45], v[138:139]              // 000000005FFC: D3B1408A 1803152C
	v_pk_mul_f32 v[144:145], v[44:45], v[144:145]              // 000000006004: D3B14090 1803212C
	v_pk_mul_f32 v[146:147], v[44:45], v[146:147]              // 00000000600C: D3B14092 1803252C
	v_pk_mul_f32 v[152:153], v[44:45], v[152:153]              // 000000006014: D3B14098 1803312C
	v_pk_mul_f32 v[154:155], v[44:45], v[154:155]              // 00000000601C: D3B1409A 1803352C
	v_mov_b32_e32 v44, v26                                     // 000000006024: 7E58031A
	v_mov_b32_e32 v45, v26                                     // 000000006028: 7E5A031A
	v_pk_mul_f32 v[132:133], v[44:45], v[132:133]              // 00000000602C: D3B14084 1803092C
	v_pk_mul_f32 v[134:135], v[44:45], v[134:135]              // 000000006034: D3B14086 18030D2C
	v_pk_mul_f32 v[140:141], v[44:45], v[140:141]              // 00000000603C: D3B1408C 1803192C
	v_pk_mul_f32 v[142:143], v[44:45], v[142:143]              // 000000006044: D3B1408E 18031D2C
	v_pk_mul_f32 v[148:149], v[44:45], v[148:149]              // 00000000604C: D3B14094 1803292C
	v_pk_mul_f32 v[150:151], v[44:45], v[150:151]              // 000000006054: D3B14096 18032D2C
	v_pk_mul_f32 v[156:157], v[44:45], v[156:157]              // 00000000605C: D3B1409C 1803392C
	v_pk_mul_f32 v[158:159], v[44:45], v[158:159]              // 000000006064: D3B1409E 18033D2C
	v_cvt_pk_bf16_f32 v128, v128, v129                         // 00000000606C: D2680080 00030380
	v_cvt_pk_bf16_f32 v129, v130, v131                         // 000000006074: D2680081 00030782
	v_cvt_pk_bf16_f32 v130, v132, v133                         // 00000000607C: D2680082 00030B84
	v_cvt_pk_bf16_f32 v131, v134, v135                         // 000000006084: D2680083 00030F86
	v_cvt_pk_bf16_f32 v132, v136, v137                         // 00000000608C: D2680084 00031388
	v_cvt_pk_bf16_f32 v133, v138, v139                         // 000000006094: D2680085 0003178A
	v_cvt_pk_bf16_f32 v134, v140, v141                         // 00000000609C: D2680086 00031B8C
	v_cvt_pk_bf16_f32 v135, v142, v143                         // 0000000060A4: D2680087 00031F8E
	v_cvt_pk_bf16_f32 v136, v144, v145                         // 0000000060AC: D2680088 00032390
	v_cvt_pk_bf16_f32 v137, v146, v147                         // 0000000060B4: D2680089 00032792
	v_cvt_pk_bf16_f32 v138, v148, v149                         // 0000000060BC: D268008A 00032B94
	v_cvt_pk_bf16_f32 v139, v150, v151                         // 0000000060C4: D268008B 00032F96
	v_cvt_pk_bf16_f32 v140, v152, v153                         // 0000000060CC: D268008C 00033398
	v_cvt_pk_bf16_f32 v141, v154, v155                         // 0000000060D4: D268008D 0003379A
	v_cvt_pk_bf16_f32 v142, v156, v157                         // 0000000060DC: D268008E 00033B9C
	v_cvt_pk_bf16_f32 v143, v158, v159                         // 0000000060E4: D268008F 00033F9E
	s_cmp_ge_u32 s80, 0x200                                    // 0000000060EC: BF09FF50 00000200
	s_cselect_b32 s59, 0x200, s59                              // 0000000060F4: 853B3BFF 00000200
	s_setvskip s20, 0                                          // 0000000060FC: BF108014
	global_atomic_pk_add_bf16 v80, v64, s[8:9]                 // 000000006100: DD488000 00084050
	s_setvskip 0, 0                                            // 000000006108: BF108080
	s_setvskip s20, 0                                          // 00000000610C: BF108014
	global_atomic_pk_add_bf16 v80, v65, s[8:9] offset:256      // 000000006110: DD488100 00084150
	s_setvskip 0, 0                                            // 000000006118: BF108080
	s_setvskip s20, 1                                          // 00000000611C: BF108114
	global_atomic_pk_add_bf16 v82, v66, s[8:9]                 // 000000006120: DD488000 00084252
	s_setvskip 0, 0                                            // 000000006128: BF108080
	s_setvskip s20, 1                                          // 00000000612C: BF108114
	global_atomic_pk_add_bf16 v82, v67, s[8:9] offset:256      // 000000006130: DD488100 00084352
	s_setvskip 0, 0                                            // 000000006138: BF108080
	s_setvskip s20, 2                                          // 00000000613C: BF108214
	global_atomic_pk_add_bf16 v84, v68, s[8:9]                 // 000000006140: DD488000 00084454
	s_setvskip 0, 0                                            // 000000006148: BF108080
	s_setvskip s20, 2                                          // 00000000614C: BF108214
	global_atomic_pk_add_bf16 v84, v69, s[8:9] offset:256      // 000000006150: DD488100 00084554
	s_setvskip 0, 0                                            // 000000006158: BF108080
	s_setvskip s20, 3                                          // 00000000615C: BF108314
	global_atomic_pk_add_bf16 v86, v70, s[8:9]                 // 000000006160: DD488000 00084656
	s_setvskip 0, 0                                            // 000000006168: BF108080
	s_setvskip s20, 3                                          // 00000000616C: BF108314
	global_atomic_pk_add_bf16 v86, v71, s[8:9] offset:256      // 000000006170: DD488100 00084756
	s_setvskip 0, 0                                            // 000000006178: BF108080
	s_setvskip s20, 4                                          // 00000000617C: BF108414
	global_atomic_pk_add_bf16 v88, v72, s[8:9]                 // 000000006180: DD488000 00084858
	s_setvskip 0, 0                                            // 000000006188: BF108080
	s_setvskip s20, 4                                          // 00000000618C: BF108414
	global_atomic_pk_add_bf16 v88, v73, s[8:9] offset:256      // 000000006190: DD488100 00084958
	s_setvskip 0, 0                                            // 000000006198: BF108080
	s_setvskip s20, 5                                          // 00000000619C: BF108514
	global_atomic_pk_add_bf16 v90, v74, s[8:9]                 // 0000000061A0: DD488000 00084A5A
	s_setvskip 0, 0                                            // 0000000061A8: BF108080
	s_setvskip s20, 5                                          // 0000000061AC: BF108514
	global_atomic_pk_add_bf16 v90, v75, s[8:9] offset:256      // 0000000061B0: DD488100 00084B5A
	s_setvskip 0, 0                                            // 0000000061B8: BF108080
	s_setvskip s20, 6                                          // 0000000061BC: BF108614
	global_atomic_pk_add_bf16 v92, v76, s[8:9]                 // 0000000061C0: DD488000 00084C5C
	s_setvskip 0, 0                                            // 0000000061C8: BF108080
	s_setvskip s20, 6                                          // 0000000061CC: BF108614
	global_atomic_pk_add_bf16 v92, v77, s[8:9] offset:256      // 0000000061D0: DD488100 00084D5C
	s_setvskip 0, 0                                            // 0000000061D8: BF108080
	s_setvskip s20, 7                                          // 0000000061DC: BF108714
	global_atomic_pk_add_bf16 v94, v78, s[8:9]                 // 0000000061E0: DD488000 00084E5E
	s_setvskip 0, 0                                            // 0000000061E8: BF108080
	s_setvskip s20, 7                                          // 0000000061EC: BF108714
	global_atomic_pk_add_bf16 v94, v79, s[8:9] offset:256      // 0000000061F0: DD488100 00084F5E
	s_setvskip 0, 0                                            // 0000000061F8: BF108080
	s_add_u32 s8, s59, s8                                      // 0000000061FC: 8008083B
	s_addc_u32 s9, 0, s9                                       // 000000006200: 82090980
	s_addk_i32 s80, 0x100                                      // 000000006204: B7500100
	s_cmp_lt_i32 s80, s81                                      // 000000006208: BF045150
	s_cbranch_scc0 label_086E                                  // 00000000620C: BF84FB6A
	s_waitcnt vmcnt(4) lgkmcnt(0)                              // 000000006210: BF8C0074
	s_barrier                                                  // 000000006214: BF8A0000
	v_mfma_f32_16x16x128_f8f6f4 v[160:163], a[32:39], v[96:103], 0// 000000006218: D3AD00A0 0A02C120
	buffer_load_dwordx4 a[0:3], v36, s[12:15], 0 offen         // 000000006220: E05C1000 80830024
	buffer_load_dwordx4 a[4:7], v36, s[12:15], 0 offen offset:1024// 000000006228: E05C1400 80830424
	v_mfma_f32_16x16x128_f8f6f4 v[164:167], a[32:39], v[104:111], 0// 000000006230: D3AD00A4 0A02D120
	ds_read_b32 v64, v5 offset:38400                           // 000000006238: D86C9600 40000005
	ds_read_b32 v65, v5 offset:42752                           // 000000006240: D86CA700 41000005
	ds_read_b32 v66, v5 offset:38408                           // 000000006248: D86C9608 42000005
	ds_read_b32 v67, v5 offset:42760                           // 000000006250: D86CA708 43000005
	v_mfma_f32_16x16x128_f8f6f4 v[168:171], a[40:47], v[96:103], 0// 000000006258: D3AD00A8 0A02C128
	buffer_load_dwordx4 a[8:11], v37, s[12:15], 0 offen        // 000000006260: E05C1000 80830825
	buffer_load_dwordx4 a[12:15], v37, s[12:15], 0 offen offset:1024// 000000006268: E05C1400 80830C25
	buffer_load_dword v23, v6, s[16:19], 0 offen               // 000000006270: E0501000 80041706
	v_mfma_f32_16x16x128_f8f6f4 v[172:175], a[40:47], v[104:111], 0// 000000006278: D3AD00AC 0A02D128
	ds_read_b32 v68, v5 offset:38432                           // 000000006280: D86C9620 44000005
	ds_read_b32 v69, v5 offset:42784                           // 000000006288: D86CA720 45000005
	ds_read_b32 v70, v5 offset:38440                           // 000000006290: D86C9628 46000005
	ds_read_b32 v71, v5 offset:42792                           // 000000006298: D86CA728 47000005
	s_waitcnt vmcnt(5)                                         // 0000000062A0: BF8C0F75
	v_mfma_f32_16x16x128_f8f6f4 v[176:179], a[48:55], v[96:103], 0// 0000000062A4: D3AD00B0 0A02C130
	buffer_load_dwordx4 a[16:19], v38, s[12:15], 0 offen       // 0000000062AC: E05C1000 80831026
	buffer_load_dwordx4 a[20:23], v38, s[12:15], 0 offen offset:1024// 0000000062B4: E05C1400 80831426
	v_mfma_f32_16x16x128_f8f6f4 v[180:183], a[48:55], v[104:111], 0// 0000000062BC: D3AD00B4 0A02D130
	ds_read_b32 v72, v5 offset:47104                           // 0000000062C4: D86CB800 48000005
	ds_read_b32 v73, v5 offset:51456                           // 0000000062CC: D86CC900 49000005
	ds_read_b32 v74, v5 offset:47112                           // 0000000062D4: D86CB808 4A000005
	ds_read_b32 v75, v5 offset:51464                           // 0000000062DC: D86CC908 4B000005
	ds_write_b64 v4, v[128:129] offset:20992                   // 0000000062E4: D89A5200 00008004
	ds_write_b64 v4, v[130:131] offset:29696                   // 0000000062EC: D89A7400 00008204
	ds_write_b64 v4, v[132:133] offset:23168                   // 0000000062F4: D89A5A80 00008404
	ds_write_b64 v4, v[134:135] offset:31872                   // 0000000062FC: D89A7C80 00008604
	v_mfma_f32_16x16x128_f8f6f4 v[184:187], a[56:63], v[96:103], 0// 000000006304: D3AD00B8 0A02C138
	buffer_load_dwordx4 a[24:27], v39, s[12:15], 0 offen       // 00000000630C: E05C1000 80831827
	buffer_load_dwordx4 a[28:31], v39, s[12:15], 0 offen offset:1024// 000000006314: E05C1400 80831C27
	v_mfma_f32_16x16x128_f8f6f4 v[188:191], a[56:63], v[104:111], 0// 00000000631C: D3AD00BC 0A02D138
	ds_read_b32 v76, v5 offset:47136                           // 000000006324: D86CB820 4C000005
	ds_read_b32 v77, v5 offset:51488                           // 00000000632C: D86CC920 4D000005
	ds_read_b32 v78, v5 offset:47144                           // 000000006334: D86CB828 4E000005
	ds_read_b32 v79, v5 offset:51496                           // 00000000633C: D86CC928 4F000005
	ds_write_b64 v4, v[136:137] offset:25344                   // 000000006344: D89A6300 00008804
	ds_write_b64 v4, v[138:139] offset:34048                   // 00000000634C: D89A8500 00008A04
	ds_write_b64 v4, v[140:141] offset:27520                   // 000000006354: D89A6B80 00008C04
	ds_write_b64 v4, v[142:143] offset:36224                   // 00000000635C: D89A8D80 00008E04
	v_mul_f32_dpp v44, v24, v30 row_newbcast:0 row_mask:0xf bank_mask:0xf// 000000006364: 0A583CFA FF015018
	v_mov_b32_e32 v45, v44                                     // 00000000636C: 7E5A032C
	v_pk_mul_f32 v[160:161], v[44:45], v[160:161]              // 000000006370: D3B140A0 1803412C
	v_pk_mul_f32 v[162:163], v[44:45], v[162:163]              // 000000006378: D3B140A2 1803452C
	v_pk_mul_f32 v[168:169], v[44:45], v[168:169]              // 000000006380: D3B140A8 1803512C
	v_pk_mul_f32 v[170:171], v[44:45], v[170:171]              // 000000006388: D3B140AA 1803552C
	v_mul_f32_dpp v44, v24, v30 row_newbcast:1 row_mask:0xf bank_mask:0xf// 000000006390: 0A583CFA FF015118
	v_mov_b32_e32 v45, v44                                     // 000000006398: 7E5A032C
	v_pk_mul_f32 v[176:177], v[44:45], v[176:177]              // 00000000639C: D3B140B0 1803612C
	v_pk_mul_f32 v[178:179], v[44:45], v[178:179]              // 0000000063A4: D3B140B2 1803652C
	v_pk_mul_f32 v[184:185], v[44:45], v[184:185]              // 0000000063AC: D3B140B8 1803712C
	v_pk_mul_f32 v[186:187], v[44:45], v[186:187]              // 0000000063B4: D3B140BA 1803752C
	v_mul_f32_dpp v44, v24, v31 row_newbcast:0 row_mask:0xf bank_mask:0xf// 0000000063BC: 0A583EFA FF015018
	v_mov_b32_e32 v45, v44                                     // 0000000063C4: 7E5A032C
	v_pk_mul_f32 v[164:165], v[44:45], v[164:165]              // 0000000063C8: D3B140A4 1803492C
	v_pk_mul_f32 v[166:167], v[44:45], v[166:167]              // 0000000063D0: D3B140A6 18034D2C
	v_pk_mul_f32 v[172:173], v[44:45], v[172:173]              // 0000000063D8: D3B140AC 1803592C
	v_pk_mul_f32 v[174:175], v[44:45], v[174:175]              // 0000000063E0: D3B140AE 18035D2C
	v_mul_f32_dpp v44, v24, v31 row_newbcast:1 row_mask:0xf bank_mask:0xf// 0000000063E8: 0A583EFA FF015118
	v_mov_b32_e32 v45, v44                                     // 0000000063F0: 7E5A032C
	v_pk_mul_f32 v[180:181], v[44:45], v[180:181]              // 0000000063F4: D3B140B4 1803692C
	v_pk_mul_f32 v[182:183], v[44:45], v[182:183]              // 0000000063FC: D3B140B6 18036D2C
	v_pk_mul_f32 v[188:189], v[44:45], v[188:189]              // 000000006404: D3B140BC 1803792C
	v_pk_mul_f32 v[190:191], v[44:45], v[190:191]              // 00000000640C: D3B140BE 18037D2C
	s_add_u32 s60, 0x200, s80                                  // 000000006414: 803C50FF 00000200
	s_cmp_lt_u32 s60, s81                                      // 00000000641C: BF0A513C
	s_cselect_b32 s56, s56, 0                                  // 000000006420: 85388038
	s_cselect_b32 s78, s78, 0                                  // 000000006424: 854E804E
	s_cselect_b32 s79, s79, 0                                  // 000000006428: 854F804F
	s_add_u32 s12, s56, s12                                    // 00000000642C: 800C0C38
	s_addc_u32 s13, 0, s13                                     // 000000006430: 820D0D80
	s_add_u32 s16, s79, s16                                    // 000000006434: 8010104F
	s_addc_u32 s17, 0, s17                                     // 000000006438: 82111180
	v_mov_b32_e32 v44, v25                                     // 00000000643C: 7E580319
	v_mov_b32_e32 v45, v25                                     // 000000006440: 7E5A0319
	v_pk_mul_f32 v[160:161], v[44:45], v[160:161]              // 000000006444: D3B140A0 1803412C
	v_pk_mul_f32 v[162:163], v[44:45], v[162:163]              // 00000000644C: D3B140A2 1803452C
	v_pk_mul_f32 v[168:169], v[44:45], v[168:169]              // 000000006454: D3B140A8 1803512C
	v_pk_mul_f32 v[170:171], v[44:45], v[170:171]              // 00000000645C: D3B140AA 1803552C
	v_pk_mul_f32 v[176:177], v[44:45], v[176:177]              // 000000006464: D3B140B0 1803612C
	v_pk_mul_f32 v[178:179], v[44:45], v[178:179]              // 00000000646C: D3B140B2 1803652C
	v_pk_mul_f32 v[184:185], v[44:45], v[184:185]              // 000000006474: D3B140B8 1803712C
	v_pk_mul_f32 v[186:187], v[44:45], v[186:187]              // 00000000647C: D3B140BA 1803752C
	v_mov_b32_e32 v44, v26                                     // 000000006484: 7E58031A
	v_mov_b32_e32 v45, v26                                     // 000000006488: 7E5A031A
	v_pk_mul_f32 v[164:165], v[44:45], v[164:165]              // 00000000648C: D3B140A4 1803492C
	v_pk_mul_f32 v[166:167], v[44:45], v[166:167]              // 000000006494: D3B140A6 18034D2C
	v_pk_mul_f32 v[172:173], v[44:45], v[172:173]              // 00000000649C: D3B140AC 1803592C
	v_pk_mul_f32 v[174:175], v[44:45], v[174:175]              // 0000000064A4: D3B140AE 18035D2C
	v_pk_mul_f32 v[180:181], v[44:45], v[180:181]              // 0000000064AC: D3B140B4 1803692C
	v_pk_mul_f32 v[182:183], v[44:45], v[182:183]              // 0000000064B4: D3B140B6 18036D2C
	v_pk_mul_f32 v[188:189], v[44:45], v[188:189]              // 0000000064BC: D3B140BC 1803792C
	v_pk_mul_f32 v[190:191], v[44:45], v[190:191]              // 0000000064C4: D3B140BE 18037D2C
	v_cvt_pk_bf16_f32 v160, v160, v161                         // 0000000064CC: D26800A0 000343A0
	v_cvt_pk_bf16_f32 v161, v162, v163                         // 0000000064D4: D26800A1 000347A2
	v_cvt_pk_bf16_f32 v162, v164, v165                         // 0000000064DC: D26800A2 00034BA4
	v_cvt_pk_bf16_f32 v163, v166, v167                         // 0000000064E4: D26800A3 00034FA6
	v_cvt_pk_bf16_f32 v164, v168, v169                         // 0000000064EC: D26800A4 000353A8
	v_cvt_pk_bf16_f32 v165, v170, v171                         // 0000000064F4: D26800A5 000357AA
	v_cvt_pk_bf16_f32 v166, v172, v173                         // 0000000064FC: D26800A6 00035BAC
	v_cvt_pk_bf16_f32 v167, v174, v175                         // 000000006504: D26800A7 00035FAE
	v_cvt_pk_bf16_f32 v168, v176, v177                         // 00000000650C: D26800A8 000363B0
	v_cvt_pk_bf16_f32 v169, v178, v179                         // 000000006514: D26800A9 000367B2
	v_cvt_pk_bf16_f32 v170, v180, v181                         // 00000000651C: D26800AA 00036BB4
	v_cvt_pk_bf16_f32 v171, v182, v183                         // 000000006524: D26800AB 00036FB6
	v_cvt_pk_bf16_f32 v172, v184, v185                         // 00000000652C: D26800AC 000373B8
	v_cvt_pk_bf16_f32 v173, v186, v187                         // 000000006534: D26800AD 000377BA
	v_cvt_pk_bf16_f32 v174, v188, v189                         // 00000000653C: D26800AE 00037BBC
	v_cvt_pk_bf16_f32 v175, v190, v191                         // 000000006544: D26800AF 00037FBE
	s_cmp_ge_u32 s80, 0x200                                    // 00000000654C: BF09FF50 00000200
	s_cselect_b32 s59, 0x200, s59                              // 000000006554: 853B3BFF 00000200
	s_setvskip s20, 0                                          // 00000000655C: BF108014
	global_atomic_pk_add_bf16 v80, v64, s[8:9]                 // 000000006560: DD488000 00084050
	s_setvskip 0, 0                                            // 000000006568: BF108080
	s_setvskip s20, 0                                          // 00000000656C: BF108014
	global_atomic_pk_add_bf16 v80, v65, s[8:9] offset:256      // 000000006570: DD488100 00084150
	s_setvskip 0, 0                                            // 000000006578: BF108080
	s_setvskip s20, 1                                          // 00000000657C: BF108114
	global_atomic_pk_add_bf16 v82, v66, s[8:9]                 // 000000006580: DD488000 00084252
	s_setvskip 0, 0                                            // 000000006588: BF108080
	s_setvskip s20, 1                                          // 00000000658C: BF108114
	global_atomic_pk_add_bf16 v82, v67, s[8:9] offset:256      // 000000006590: DD488100 00084352
	s_setvskip 0, 0                                            // 000000006598: BF108080
	s_setvskip s20, 2                                          // 00000000659C: BF108214
	global_atomic_pk_add_bf16 v84, v68, s[8:9]                 // 0000000065A0: DD488000 00084454
	s_setvskip 0, 0                                            // 0000000065A8: BF108080
	s_setvskip s20, 2                                          // 0000000065AC: BF108214
	global_atomic_pk_add_bf16 v84, v69, s[8:9] offset:256      // 0000000065B0: DD488100 00084554
	s_setvskip 0, 0                                            // 0000000065B8: BF108080
	s_setvskip s20, 3                                          // 0000000065BC: BF108314
	global_atomic_pk_add_bf16 v86, v70, s[8:9]                 // 0000000065C0: DD488000 00084656
	s_setvskip 0, 0                                            // 0000000065C8: BF108080
	s_setvskip s20, 3                                          // 0000000065CC: BF108314
	global_atomic_pk_add_bf16 v86, v71, s[8:9] offset:256      // 0000000065D0: DD488100 00084756
	s_setvskip 0, 0                                            // 0000000065D8: BF108080
	s_setvskip s20, 4                                          // 0000000065DC: BF108414
	global_atomic_pk_add_bf16 v88, v72, s[8:9]                 // 0000000065E0: DD488000 00084858
	s_setvskip 0, 0                                            // 0000000065E8: BF108080
	s_setvskip s20, 4                                          // 0000000065EC: BF108414
	global_atomic_pk_add_bf16 v88, v73, s[8:9] offset:256      // 0000000065F0: DD488100 00084958
	s_setvskip 0, 0                                            // 0000000065F8: BF108080
	s_setvskip s20, 5                                          // 0000000065FC: BF108514
	global_atomic_pk_add_bf16 v90, v74, s[8:9]                 // 000000006600: DD488000 00084A5A
	s_setvskip 0, 0                                            // 000000006608: BF108080
	s_setvskip s20, 5                                          // 00000000660C: BF108514
	global_atomic_pk_add_bf16 v90, v75, s[8:9] offset:256      // 000000006610: DD488100 00084B5A
	s_setvskip 0, 0                                            // 000000006618: BF108080
	s_setvskip s20, 6                                          // 00000000661C: BF108614
	global_atomic_pk_add_bf16 v92, v76, s[8:9]                 // 000000006620: DD488000 00084C5C
	s_setvskip 0, 0                                            // 000000006628: BF108080
	s_setvskip s20, 6                                          // 00000000662C: BF108614
	global_atomic_pk_add_bf16 v92, v77, s[8:9] offset:256      // 000000006630: DD488100 00084D5C
	s_setvskip 0, 0                                            // 000000006638: BF108080
	s_setvskip s20, 7                                          // 00000000663C: BF108714
	global_atomic_pk_add_bf16 v94, v78, s[8:9]                 // 000000006640: DD488000 00084E5E
	s_setvskip 0, 0                                            // 000000006648: BF108080
	s_setvskip s20, 7                                          // 00000000664C: BF108714
	global_atomic_pk_add_bf16 v94, v79, s[8:9] offset:256      // 000000006650: DD488100 00084F5E
	s_setvskip 0, 0                                            // 000000006658: BF108080
	s_add_u32 s8, s59, s8                                      // 00000000665C: 8008083B
	s_addc_u32 s9, 0, s9                                       // 000000006660: 82090980
	s_addk_i32 s80, 0x100                                      // 000000006664: B7500100
	s_cmp_lt_i32 s80, s81                                      // 000000006668: BF045150
	s_cbranch_scc0 label_086E                                  // 00000000666C: BF84FA52
	s_branch label_0BEC                                        // 000000006670: BF82FDCF

0000000000006674 <label_0E1D>:
	s_cmp_ge_u32 s59, 0                                        // 000000006674: BF09803B
	s_cselect_b32 s59, 0x200, s59                              // 000000006678: 853B3BFF 00000200
	s_waitcnt lgkmcnt(0)                                       // 000000006680: BF8CC07F
	s_barrier                                                  // 000000006684: BF8A0000
	s_cmp_eq_u32 s64, 0x100                                    // 000000006688: BF06FF40 00000100
	s_cbranch_scc0 label_0E99                                  // 000000006690: BF840074
	ds_write_b64 v4, v[128:129] offset:20992                   // 000000006694: D89A5200 00008004
	ds_write_b64 v4, v[130:131] offset:29696                   // 00000000669C: D89A7400 00008204
	ds_write_b64 v4, v[132:133] offset:23168                   // 0000000066A4: D89A5A80 00008404
	ds_write_b64 v4, v[134:135] offset:31872                   // 0000000066AC: D89A7C80 00008604
	ds_write_b64 v4, v[136:137] offset:25344                   // 0000000066B4: D89A6300 00008804
	ds_write_b64 v4, v[138:139] offset:34048                   // 0000000066BC: D89A8500 00008A04
	ds_write_b64 v4, v[140:141] offset:27520                   // 0000000066C4: D89A6B80 00008C04
	ds_write_b64 v4, v[142:143] offset:36224                   // 0000000066CC: D89A8D80 00008E04
	s_waitcnt lgkmcnt(0)                                       // 0000000066D4: BF8CC07F
	s_barrier                                                  // 0000000066D8: BF8A0000
	ds_read_b32 v64, v5 offset:20992                           // 0000000066DC: D86C5200 40000005
	ds_read_b32 v65, v5 offset:25344                           // 0000000066E4: D86C6300 41000005
	ds_read_b32 v66, v5 offset:21000                           // 0000000066EC: D86C5208 42000005
	ds_read_b32 v67, v5 offset:25352                           // 0000000066F4: D86C6308 43000005
	ds_read_b32 v68, v5 offset:21024                           // 0000000066FC: D86C5220 44000005
	ds_read_b32 v69, v5 offset:25376                           // 000000006704: D86C6320 45000005
	ds_read_b32 v70, v5 offset:21032                           // 00000000670C: D86C5228 46000005
	ds_read_b32 v71, v5 offset:25384                           // 000000006714: D86C6328 47000005
	ds_read_b32 v72, v5 offset:29696                           // 00000000671C: D86C7400 48000005
	ds_read_b32 v73, v5 offset:34048                           // 000000006724: D86C8500 49000005
	ds_read_b32 v74, v5 offset:29704                           // 00000000672C: D86C7408 4A000005
	ds_read_b32 v75, v5 offset:34056                           // 000000006734: D86C8508 4B000005
	ds_read_b32 v76, v5 offset:29728                           // 00000000673C: D86C7420 4C000005
	ds_read_b32 v77, v5 offset:34080                           // 000000006744: D86C8520 4D000005
	ds_read_b32 v78, v5 offset:29736                           // 00000000674C: D86C7428 4E000005
	ds_read_b32 v79, v5 offset:34088                           // 000000006754: D86C8528 4F000005
	s_waitcnt lgkmcnt(0)                                       // 00000000675C: BF8CC07F
	s_setvskip s20, 0                                          // 000000006760: BF108014
	global_atomic_pk_add_bf16 v80, v64, s[8:9]                 // 000000006764: DD488000 00084050
	s_setvskip 0, 0                                            // 00000000676C: BF108080
	s_setvskip s20, 0                                          // 000000006770: BF108014
	global_atomic_pk_add_bf16 v80, v65, s[8:9] offset:256      // 000000006774: DD488100 00084150
	s_setvskip 0, 0                                            // 00000000677C: BF108080
	s_setvskip s20, 1                                          // 000000006780: BF108114
	global_atomic_pk_add_bf16 v82, v66, s[8:9]                 // 000000006784: DD488000 00084252
	s_setvskip 0, 0                                            // 00000000678C: BF108080
	s_setvskip s20, 1                                          // 000000006790: BF108114
	global_atomic_pk_add_bf16 v82, v67, s[8:9] offset:256      // 000000006794: DD488100 00084352
	s_setvskip 0, 0                                            // 00000000679C: BF108080
	s_setvskip s20, 2                                          // 0000000067A0: BF108214
	global_atomic_pk_add_bf16 v84, v68, s[8:9]                 // 0000000067A4: DD488000 00084454
	s_setvskip 0, 0                                            // 0000000067AC: BF108080
	s_setvskip s20, 2                                          // 0000000067B0: BF108214
	global_atomic_pk_add_bf16 v84, v69, s[8:9] offset:256      // 0000000067B4: DD488100 00084554
	s_setvskip 0, 0                                            // 0000000067BC: BF108080
	s_setvskip s20, 3                                          // 0000000067C0: BF108314
	global_atomic_pk_add_bf16 v86, v70, s[8:9]                 // 0000000067C4: DD488000 00084656
	s_setvskip 0, 0                                            // 0000000067CC: BF108080
	s_setvskip s20, 3                                          // 0000000067D0: BF108314
	global_atomic_pk_add_bf16 v86, v71, s[8:9] offset:256      // 0000000067D4: DD488100 00084756
	s_setvskip 0, 0                                            // 0000000067DC: BF108080
	s_setvskip s20, 4                                          // 0000000067E0: BF108414
	global_atomic_pk_add_bf16 v88, v72, s[8:9]                 // 0000000067E4: DD488000 00084858
	s_setvskip 0, 0                                            // 0000000067EC: BF108080
	s_setvskip s20, 4                                          // 0000000067F0: BF108414
	global_atomic_pk_add_bf16 v88, v73, s[8:9] offset:256      // 0000000067F4: DD488100 00084958
	s_setvskip 0, 0                                            // 0000000067FC: BF108080
	s_setvskip s20, 5                                          // 000000006800: BF108514
	global_atomic_pk_add_bf16 v90, v74, s[8:9]                 // 000000006804: DD488000 00084A5A
	s_setvskip 0, 0                                            // 00000000680C: BF108080
	s_setvskip s20, 5                                          // 000000006810: BF108514
	global_atomic_pk_add_bf16 v90, v75, s[8:9] offset:256      // 000000006814: DD488100 00084B5A
	s_setvskip 0, 0                                            // 00000000681C: BF108080
	s_setvskip s20, 6                                          // 000000006820: BF108614
	global_atomic_pk_add_bf16 v92, v76, s[8:9]                 // 000000006824: DD488000 00084C5C
	s_setvskip 0, 0                                            // 00000000682C: BF108080
	s_setvskip s20, 6                                          // 000000006830: BF108614
	global_atomic_pk_add_bf16 v92, v77, s[8:9] offset:256      // 000000006834: DD488100 00084D5C
	s_setvskip 0, 0                                            // 00000000683C: BF108080
	s_setvskip s20, 7                                          // 000000006840: BF108714
	global_atomic_pk_add_bf16 v94, v78, s[8:9]                 // 000000006844: DD488000 00084E5E
	s_setvskip 0, 0                                            // 00000000684C: BF108080
	s_setvskip s20, 7                                          // 000000006850: BF108714
	global_atomic_pk_add_bf16 v94, v79, s[8:9] offset:256      // 000000006854: DD488100 00084F5E
	s_setvskip 0, 0                                            // 00000000685C: BF108080
	s_branch label_0F6F                                        // 000000006860: BF8200D6

0000000000006864 <label_0E99>:
	ds_read_b32 v64, v5 offset:20992                           // 000000006864: D86C5200 40000005
	ds_read_b32 v65, v5 offset:25344                           // 00000000686C: D86C6300 41000005
	ds_read_b32 v66, v5 offset:21000                           // 000000006874: D86C5208 42000005
	ds_read_b32 v67, v5 offset:25352                           // 00000000687C: D86C6308 43000005
	ds_read_b32 v68, v5 offset:21024                           // 000000006884: D86C5220 44000005
	ds_read_b32 v69, v5 offset:25376                           // 00000000688C: D86C6320 45000005
	ds_read_b32 v70, v5 offset:21032                           // 000000006894: D86C5228 46000005
	ds_read_b32 v71, v5 offset:25384                           // 00000000689C: D86C6328 47000005
	ds_read_b32 v72, v5 offset:29696                           // 0000000068A4: D86C7400 48000005
	ds_read_b32 v73, v5 offset:34048                           // 0000000068AC: D86C8500 49000005
	ds_read_b32 v74, v5 offset:29704                           // 0000000068B4: D86C7408 4A000005
	ds_read_b32 v75, v5 offset:34056                           // 0000000068BC: D86C8508 4B000005
	ds_read_b32 v76, v5 offset:29728                           // 0000000068C4: D86C7420 4C000005
	ds_read_b32 v77, v5 offset:34080                           // 0000000068CC: D86C8520 4D000005
	ds_read_b32 v78, v5 offset:29736                           // 0000000068D4: D86C7428 4E000005
	ds_read_b32 v79, v5 offset:34088                           // 0000000068DC: D86C8528 4F000005
	s_waitcnt lgkmcnt(0)                                       // 0000000068E4: BF8CC07F
	s_setvskip s20, 0                                          // 0000000068E8: BF108014
	global_atomic_pk_add_bf16 v80, v64, s[8:9]                 // 0000000068EC: DD488000 00084050
	s_setvskip 0, 0                                            // 0000000068F4: BF108080
	s_setvskip s20, 0                                          // 0000000068F8: BF108014
	global_atomic_pk_add_bf16 v80, v65, s[8:9] offset:256      // 0000000068FC: DD488100 00084150
	s_setvskip 0, 0                                            // 000000006904: BF108080
	s_setvskip s20, 1                                          // 000000006908: BF108114
	global_atomic_pk_add_bf16 v82, v66, s[8:9]                 // 00000000690C: DD488000 00084252
	s_setvskip 0, 0                                            // 000000006914: BF108080
	s_setvskip s20, 1                                          // 000000006918: BF108114
	global_atomic_pk_add_bf16 v82, v67, s[8:9] offset:256      // 00000000691C: DD488100 00084352
	s_setvskip 0, 0                                            // 000000006924: BF108080
	s_setvskip s20, 2                                          // 000000006928: BF108214
	global_atomic_pk_add_bf16 v84, v68, s[8:9]                 // 00000000692C: DD488000 00084454
	s_setvskip 0, 0                                            // 000000006934: BF108080
	s_setvskip s20, 2                                          // 000000006938: BF108214
	global_atomic_pk_add_bf16 v84, v69, s[8:9] offset:256      // 00000000693C: DD488100 00084554
	s_setvskip 0, 0                                            // 000000006944: BF108080
	s_setvskip s20, 3                                          // 000000006948: BF108314
	global_atomic_pk_add_bf16 v86, v70, s[8:9]                 // 00000000694C: DD488000 00084656
	s_setvskip 0, 0                                            // 000000006954: BF108080
	s_setvskip s20, 3                                          // 000000006958: BF108314
	global_atomic_pk_add_bf16 v86, v71, s[8:9] offset:256      // 00000000695C: DD488100 00084756
	s_setvskip 0, 0                                            // 000000006964: BF108080
	s_setvskip s20, 4                                          // 000000006968: BF108414
	global_atomic_pk_add_bf16 v88, v72, s[8:9]                 // 00000000696C: DD488000 00084858
	s_setvskip 0, 0                                            // 000000006974: BF108080
	s_setvskip s20, 4                                          // 000000006978: BF108414
	global_atomic_pk_add_bf16 v88, v73, s[8:9] offset:256      // 00000000697C: DD488100 00084958
	s_setvskip 0, 0                                            // 000000006984: BF108080
	s_setvskip s20, 5                                          // 000000006988: BF108514
	global_atomic_pk_add_bf16 v90, v74, s[8:9]                 // 00000000698C: DD488000 00084A5A
	s_setvskip 0, 0                                            // 000000006994: BF108080
	s_setvskip s20, 5                                          // 000000006998: BF108514
	global_atomic_pk_add_bf16 v90, v75, s[8:9] offset:256      // 00000000699C: DD488100 00084B5A
	s_setvskip 0, 0                                            // 0000000069A4: BF108080
	s_setvskip s20, 6                                          // 0000000069A8: BF108614
	global_atomic_pk_add_bf16 v92, v76, s[8:9]                 // 0000000069AC: DD488000 00084C5C
	s_setvskip 0, 0                                            // 0000000069B4: BF108080
	s_setvskip s20, 6                                          // 0000000069B8: BF108614
	global_atomic_pk_add_bf16 v92, v77, s[8:9] offset:256      // 0000000069BC: DD488100 00084D5C
	s_setvskip 0, 0                                            // 0000000069C4: BF108080
	s_setvskip s20, 7                                          // 0000000069C8: BF108714
	global_atomic_pk_add_bf16 v94, v78, s[8:9]                 // 0000000069CC: DD488000 00084E5E
	s_setvskip 0, 0                                            // 0000000069D4: BF108080
	s_setvskip s20, 7                                          // 0000000069D8: BF108714
	global_atomic_pk_add_bf16 v94, v79, s[8:9] offset:256      // 0000000069DC: DD488100 00084F5E
	s_setvskip 0, 0                                            // 0000000069E4: BF108080
	s_add_u32 s8, s59, s8                                      // 0000000069E8: 8008083B
	s_addc_u32 s9, 0, s9                                       // 0000000069EC: 82090980
	ds_write_b64 v4, v[160:161] offset:38400                   // 0000000069F0: D89A9600 0000A004
	ds_write_b64 v4, v[162:163] offset:47104                   // 0000000069F8: D89AB800 0000A204
	ds_write_b64 v4, v[164:165] offset:40576                   // 000000006A00: D89A9E80 0000A404
	ds_write_b64 v4, v[166:167] offset:49280                   // 000000006A08: D89AC080 0000A604
	ds_write_b64 v4, v[168:169] offset:42752                   // 000000006A10: D89AA700 0000A804
	ds_write_b64 v4, v[170:171] offset:51456                   // 000000006A18: D89AC900 0000AA04
	ds_write_b64 v4, v[172:173] offset:44928                   // 000000006A20: D89AAF80 0000AC04
	ds_write_b64 v4, v[174:175] offset:53632                   // 000000006A28: D89AD180 0000AE04
	s_waitcnt lgkmcnt(0)                                       // 000000006A30: BF8CC07F
	s_barrier                                                  // 000000006A34: BF8A0000
	ds_read_b32 v64, v5 offset:38400                           // 000000006A38: D86C9600 40000005
	ds_read_b32 v65, v5 offset:42752                           // 000000006A40: D86CA700 41000005
	ds_read_b32 v66, v5 offset:38408                           // 000000006A48: D86C9608 42000005
	ds_read_b32 v67, v5 offset:42760                           // 000000006A50: D86CA708 43000005
	ds_read_b32 v68, v5 offset:38432                           // 000000006A58: D86C9620 44000005
	ds_read_b32 v69, v5 offset:42784                           // 000000006A60: D86CA720 45000005
	ds_read_b32 v70, v5 offset:38440                           // 000000006A68: D86C9628 46000005
	ds_read_b32 v71, v5 offset:42792                           // 000000006A70: D86CA728 47000005
	ds_read_b32 v72, v5 offset:47104                           // 000000006A78: D86CB800 48000005
	ds_read_b32 v73, v5 offset:51456                           // 000000006A80: D86CC900 49000005
	ds_read_b32 v74, v5 offset:47112                           // 000000006A88: D86CB808 4A000005
	ds_read_b32 v75, v5 offset:51464                           // 000000006A90: D86CC908 4B000005
	ds_read_b32 v76, v5 offset:47136                           // 000000006A98: D86CB820 4C000005
	ds_read_b32 v77, v5 offset:51488                           // 000000006AA0: D86CC920 4D000005
	ds_read_b32 v78, v5 offset:47144                           // 000000006AA8: D86CB828 4E000005
	ds_read_b32 v79, v5 offset:51496                           // 000000006AB0: D86CC928 4F000005
	s_waitcnt lgkmcnt(0)                                       // 000000006AB8: BF8CC07F
	s_setvskip s20, 0                                          // 000000006ABC: BF108014
	global_atomic_pk_add_bf16 v80, v64, s[8:9]                 // 000000006AC0: DD488000 00084050
	s_setvskip 0, 0                                            // 000000006AC8: BF108080
	s_setvskip s20, 0                                          // 000000006ACC: BF108014
	global_atomic_pk_add_bf16 v80, v65, s[8:9] offset:256      // 000000006AD0: DD488100 00084150
	s_setvskip 0, 0                                            // 000000006AD8: BF108080
	s_setvskip s20, 1                                          // 000000006ADC: BF108114
	global_atomic_pk_add_bf16 v82, v66, s[8:9]                 // 000000006AE0: DD488000 00084252
	s_setvskip 0, 0                                            // 000000006AE8: BF108080
	s_setvskip s20, 1                                          // 000000006AEC: BF108114
	global_atomic_pk_add_bf16 v82, v67, s[8:9] offset:256      // 000000006AF0: DD488100 00084352
	s_setvskip 0, 0                                            // 000000006AF8: BF108080
	s_setvskip s20, 2                                          // 000000006AFC: BF108214
	global_atomic_pk_add_bf16 v84, v68, s[8:9]                 // 000000006B00: DD488000 00084454
	s_setvskip 0, 0                                            // 000000006B08: BF108080
	s_setvskip s20, 2                                          // 000000006B0C: BF108214
	global_atomic_pk_add_bf16 v84, v69, s[8:9] offset:256      // 000000006B10: DD488100 00084554
	s_setvskip 0, 0                                            // 000000006B18: BF108080
	s_setvskip s20, 3                                          // 000000006B1C: BF108314
	global_atomic_pk_add_bf16 v86, v70, s[8:9]                 // 000000006B20: DD488000 00084656
	s_setvskip 0, 0                                            // 000000006B28: BF108080
	s_setvskip s20, 3                                          // 000000006B2C: BF108314
	global_atomic_pk_add_bf16 v86, v71, s[8:9] offset:256      // 000000006B30: DD488100 00084756
	s_setvskip 0, 0                                            // 000000006B38: BF108080
	s_setvskip s20, 4                                          // 000000006B3C: BF108414
	global_atomic_pk_add_bf16 v88, v72, s[8:9]                 // 000000006B40: DD488000 00084858
	s_setvskip 0, 0                                            // 000000006B48: BF108080
	s_setvskip s20, 4                                          // 000000006B4C: BF108414
	global_atomic_pk_add_bf16 v88, v73, s[8:9] offset:256      // 000000006B50: DD488100 00084958
	s_setvskip 0, 0                                            // 000000006B58: BF108080
	s_setvskip s20, 5                                          // 000000006B5C: BF108514
	global_atomic_pk_add_bf16 v90, v74, s[8:9]                 // 000000006B60: DD488000 00084A5A
	s_setvskip 0, 0                                            // 000000006B68: BF108080
	s_setvskip s20, 5                                          // 000000006B6C: BF108514
	global_atomic_pk_add_bf16 v90, v75, s[8:9] offset:256      // 000000006B70: DD488100 00084B5A
	s_setvskip 0, 0                                            // 000000006B78: BF108080
	s_setvskip s20, 6                                          // 000000006B7C: BF108614
	global_atomic_pk_add_bf16 v92, v76, s[8:9]                 // 000000006B80: DD488000 00084C5C
	s_setvskip 0, 0                                            // 000000006B88: BF108080
	s_setvskip s20, 6                                          // 000000006B8C: BF108614
	global_atomic_pk_add_bf16 v92, v77, s[8:9] offset:256      // 000000006B90: DD488100 00084D5C
	s_setvskip 0, 0                                            // 000000006B98: BF108080
	s_setvskip s20, 7                                          // 000000006B9C: BF108714
	global_atomic_pk_add_bf16 v94, v78, s[8:9]                 // 000000006BA0: DD488000 00084E5E
	s_setvskip 0, 0                                            // 000000006BA8: BF108080
	s_setvskip s20, 7                                          // 000000006BAC: BF108714
	global_atomic_pk_add_bf16 v94, v79, s[8:9] offset:256      // 000000006BB0: DD488100 00084F5E
	s_setvskip 0, 0                                            // 000000006BB8: BF108080

0000000000006bbc <label_0F6F>:
	s_waitcnt vmcnt(0) expcnt(0) lgkmcnt(0)                    // 000000006BBC: BF8C0000
	s_add_u32 s100, s100, 1                                    // 000000006BC0: 80648164
	s_cmp_eq_u32 s96, 0                                        // 000000006BC4: BF068060
	s_cbranch_scc0 label_0039                                  // 000000006BC8: BF84F0C6

0000000000006bcc <label_0F73>:
	s_waitcnt vmcnt(0) expcnt(0) lgkmcnt(0)                    // 000000006BCC: BF8C0000
	s_endpgm                                                   // 000000006BD0: BF810000
